;; amdgpu-corpus repo=ROCm/rocFFT kind=compiled arch=gfx1201 opt=O3
	.text
	.amdgcn_target "amdgcn-amd-amdhsa--gfx1201"
	.amdhsa_code_object_version 6
	.protected	bluestein_single_fwd_len51_dim1_half_op_CI_CI ; -- Begin function bluestein_single_fwd_len51_dim1_half_op_CI_CI
	.globl	bluestein_single_fwd_len51_dim1_half_op_CI_CI
	.p2align	8
	.type	bluestein_single_fwd_len51_dim1_half_op_CI_CI,@function
bluestein_single_fwd_len51_dim1_half_op_CI_CI: ; @bluestein_single_fwd_len51_dim1_half_op_CI_CI
; %bb.0:
	s_load_b128 s[4:7], s[0:1], 0x28
	v_mul_u32_u24_e32 v1, 0xf10, v0
	s_mov_b32 s2, exec_lo
	s_delay_alu instid0(VALU_DEP_1) | instskip(NEXT) | instid1(VALU_DEP_1)
	v_lshrrev_b32_e32 v3, 16, v1
	v_mad_co_u64_u32 v[1:2], null, ttmp9, 15, v[3:4]
	v_mov_b32_e32 v2, 0
	s_wait_kmcnt 0x0
	s_delay_alu instid0(VALU_DEP_1)
	v_cmpx_gt_u64_e64 s[4:5], v[1:2]
	s_cbranch_execz .LBB0_15
; %bb.1:
	v_mul_hi_u32 v2, 0x88888889, v1
	v_mul_lo_u16 v3, v3, 17
	s_clause 0x1
	s_load_b64 s[12:13], s[0:1], 0x0
	s_load_b64 s[14:15], s[0:1], 0x38
	s_delay_alu instid0(VALU_DEP_1) | instskip(NEXT) | instid1(VALU_DEP_3)
	v_sub_nc_u16 v0, v0, v3
	v_lshrrev_b32_e32 v2, 3, v2
	s_delay_alu instid0(VALU_DEP_2) | instskip(SKIP_1) | instid1(VALU_DEP_3)
	v_and_b32_e32 v33, 0xffff, v0
	v_cmp_gt_u16_e32 vcc_lo, 3, v0
	v_mul_lo_u32 v2, v2, 15
	s_delay_alu instid0(VALU_DEP_3)
	v_lshlrev_b32_e32 v28, 2, v33
	v_or_b32_e32 v31, 12, v33
	v_or_b32_e32 v30, 24, v33
	;; [unrolled: 1-line block ×4, first 2 shown]
	v_sub_nc_u32_e32 v2, v1, v2
	s_delay_alu instid0(VALU_DEP_1) | instskip(NEXT) | instid1(VALU_DEP_1)
	v_mul_u32_u24_e32 v32, 51, v2
	v_lshlrev_b32_e32 v34, 2, v32
	s_and_saveexec_b32 s3, vcc_lo
	s_cbranch_execz .LBB0_3
; %bb.2:
	s_load_b64 s[4:5], s[0:1], 0x18
	s_wait_kmcnt 0x0
	s_load_b128 s[8:11], s[4:5], 0x0
	s_clause 0x10
	global_load_b32 v21, v28, s[12:13]
	global_load_b32 v22, v28, s[12:13] offset:12
	global_load_b32 v23, v28, s[12:13] offset:24
	;; [unrolled: 1-line block ×16, first 2 shown]
	s_wait_kmcnt 0x0
	v_mad_co_u64_u32 v[2:3], null, s10, v1, 0
	v_mad_co_u64_u32 v[4:5], null, s8, v33, 0
	;; [unrolled: 1-line block ×8, first 2 shown]
	s_delay_alu instid0(VALU_DEP_4) | instskip(NEXT) | instid1(VALU_DEP_4)
	v_mad_co_u64_u32 v[16:17], null, s9, v30, v[9:10]
	v_mad_co_u64_u32 v[17:18], null, s9, v29, v[11:12]
	s_delay_alu instid0(VALU_DEP_4) | instskip(SKIP_3) | instid1(VALU_DEP_4)
	v_mov_b32_e32 v3, v14
	v_mad_co_u64_u32 v[18:19], null, s9, v0, v[13:14]
	v_mov_b32_e32 v5, v15
	v_mov_b32_e32 v9, v16
	v_lshlrev_b64_e32 v[2:3], 2, v[2:3]
	v_mov_b32_e32 v11, v17
	v_mad_co_u64_u32 v[19:20], null, s9, v31, v[7:8]
	v_lshlrev_b64_e32 v[4:5], 2, v[4:5]
	v_lshlrev_b64_e32 v[7:8], 2, v[8:9]
	s_delay_alu instid0(VALU_DEP_4) | instskip(SKIP_1) | instid1(VALU_DEP_1)
	v_lshlrev_b64_e32 v[9:10], 2, v[10:11]
	v_add_co_u32 v11, s2, s6, v2
	v_add_co_ci_u32_e64 v14, s2, s7, v3, s2
	v_mov_b32_e32 v13, v18
	s_delay_alu instid0(VALU_DEP_3) | instskip(SKIP_1) | instid1(VALU_DEP_3)
	v_add_co_u32 v4, s2, v11, v4
	s_wait_alu 0xf1ff
	v_add_co_ci_u32_e64 v5, s2, v14, v5, s2
	s_delay_alu instid0(VALU_DEP_3)
	v_lshlrev_b64_e32 v[2:3], 2, v[12:13]
	v_add_co_u32 v7, s2, v11, v7
	s_wait_alu 0xf1ff
	v_add_co_ci_u32_e64 v8, s2, v14, v8, s2
	v_add_co_u32 v9, s2, v11, v9
	s_wait_alu 0xf1ff
	v_add_co_ci_u32_e64 v10, s2, v14, v10, s2
	v_add_co_u32 v2, s2, v11, v2
	s_mul_u64 s[4:5], s[8:9], 12
	v_add_co_ci_u32_e64 v3, s2, v14, v3, s2
	s_clause 0x2
	global_load_b32 v12, v[4:5], off
	global_load_b32 v8, v[7:8], off
	;; [unrolled: 1-line block ×3, first 2 shown]
	s_wait_alu 0xfffe
	v_add_co_u32 v4, s2, v4, s4
	s_wait_alu 0xf1ff
	v_add_co_ci_u32_e64 v5, s2, s5, v5, s2
	v_mov_b32_e32 v7, v19
	global_load_b32 v10, v[2:3], off
	s_mul_u64 s[6:7], s[8:9], 24
	global_load_b32 v13, v[4:5], off
	v_add_co_u32 v2, s2, v4, s4
	s_wait_alu 0xf1ff
	v_add_co_ci_u32_e64 v3, s2, s5, v5, s2
	v_lshlrev_b64_e32 v[4:5], 2, v[6:7]
	global_load_b32 v6, v[2:3], off
	v_add_co_u32 v2, s2, v2, s4
	s_wait_alu 0xf1ff
	v_add_co_ci_u32_e64 v3, s2, s5, v3, s2
	v_add_co_u32 v4, s2, v11, v4
	s_wait_alu 0xf1ff
	v_add_co_ci_u32_e64 v5, s2, v14, v5, s2
	s_clause 0x1
	global_load_b32 v7, v[2:3], off
	global_load_b32 v11, v[4:5], off
	s_wait_alu 0xfffe
	v_add_co_u32 v2, s2, v2, s6
	s_wait_alu 0xf1ff
	v_add_co_ci_u32_e64 v3, s2, s7, v3, s2
	s_delay_alu instid0(VALU_DEP_2) | instskip(SKIP_1) | instid1(VALU_DEP_2)
	v_add_co_u32 v4, s2, v2, s4
	s_wait_alu 0xf1ff
	v_add_co_ci_u32_e64 v5, s2, s5, v3, s2
	global_load_b32 v14, v[2:3], off
	global_load_b32 v15, v[4:5], off
	v_add_co_u32 v2, s2, v4, s4
	s_wait_alu 0xf1ff
	v_add_co_ci_u32_e64 v3, s2, s5, v5, s2
	s_delay_alu instid0(VALU_DEP_2) | instskip(SKIP_1) | instid1(VALU_DEP_2)
	v_add_co_u32 v4, s2, v2, s6
	s_wait_alu 0xf1ff
	v_add_co_ci_u32_e64 v5, s2, s7, v3, s2
	global_load_b32 v16, v[2:3], off
	global_load_b32 v17, v[4:5], off
	v_add_co_u32 v2, s2, v4, s4
	s_wait_alu 0xf1ff
	v_add_co_ci_u32_e64 v3, s2, s5, v5, s2
	s_delay_alu instid0(VALU_DEP_2) | instskip(SKIP_1) | instid1(VALU_DEP_2)
	v_add_co_u32 v4, s2, v2, s4
	s_wait_alu 0xf1ff
	v_add_co_ci_u32_e64 v5, s2, s5, v3, s2
	global_load_b32 v18, v[2:3], off
	v_add_co_u32 v2, s2, v4, s6
	s_wait_alu 0xf1ff
	v_add_co_ci_u32_e64 v3, s2, s7, v5, s2
	global_load_b32 v19, v[4:5], off
	;; [unrolled: 4-line block ×4, first 2 shown]
	global_load_b32 v2, v[2:3], off
	v_lshl_add_u32 v3, v33, 2, v34
	v_add_nc_u32_e32 v5, v34, v28
	s_wait_loadcnt 0x21
	v_lshrrev_b32_e32 v45, 16, v21
	s_wait_loadcnt 0x20
	v_lshrrev_b32_e32 v46, 16, v22
	;; [unrolled: 2-line block ×18, first 2 shown]
	v_mul_f16_e32 v63, v45, v12
	s_wait_loadcnt 0xf
	v_lshrrev_b32_e32 v64, 16, v8
	s_wait_loadcnt 0xe
	v_lshrrev_b32_e32 v66, 16, v9
	v_mul_f16_e32 v65, v53, v8
	v_mul_f16_e32 v45, v45, v62
	v_fma_f16 v62, v21, v62, -v63
	v_mul_f16_e32 v67, v57, v9
	s_wait_loadcnt 0xd
	v_lshrrev_b32_e32 v68, 16, v10
	v_mul_f16_e32 v53, v53, v64
	s_wait_loadcnt 0xc
	v_lshrrev_b32_e32 v63, 16, v13
	v_mul_f16_e32 v70, v46, v13
	v_mul_f16_e32 v57, v57, v66
	v_fmac_f16_e32 v45, v21, v12
	v_mul_f16_e32 v69, v61, v10
	v_mul_f16_e32 v12, v46, v63
	v_fma_f16 v64, v36, v64, -v65
	v_mul_f16_e32 v61, v61, v68
	s_wait_loadcnt 0xb
	v_lshrrev_b32_e32 v46, 16, v6
	v_fma_f16 v21, v22, v63, -v70
	v_mul_f16_e32 v63, v47, v6
	v_fmac_f16_e32 v53, v36, v8
	v_fmac_f16_e32 v57, v40, v9
	v_pack_b32_f16 v8, v45, v62
	v_fmac_f16_e32 v12, v22, v13
	v_mul_f16_e32 v9, v47, v46
	v_fma_f16 v65, v40, v66, -v67
	s_wait_loadcnt 0xa
	v_lshrrev_b32_e32 v13, 16, v7
	v_mul_f16_e32 v22, v48, v7
	v_fmac_f16_e32 v61, v44, v10
	s_wait_loadcnt 0x9
	v_lshrrev_b32_e32 v36, 16, v11
	v_fma_f16 v10, v23, v46, -v63
	v_mul_f16_e32 v40, v49, v11
	ds_store_b32 v3, v8
	v_pack_b32_f16 v3, v12, v21
	v_fmac_f16_e32 v9, v23, v6
	v_mul_f16_e32 v6, v48, v13
	v_fma_f16 v8, v24, v13, -v22
	v_mul_f16_e32 v12, v49, v36
	v_fma_f16 v13, v25, v36, -v40
	v_pack_b32_f16 v9, v9, v10
	s_wait_loadcnt 0x8
	v_lshrrev_b32_e32 v21, 16, v14
	v_mul_f16_e32 v22, v50, v14
	v_fmac_f16_e32 v6, v24, v7
	v_fmac_f16_e32 v12, v25, v11
	s_wait_loadcnt 0x7
	v_lshrrev_b32_e32 v11, 16, v15
	v_mul_f16_e32 v7, v50, v21
	v_fma_f16 v10, v26, v21, -v22
	v_mul_f16_e32 v21, v51, v15
	ds_store_2addr_b32 v5, v3, v9 offset0:3 offset1:6
	v_pack_b32_f16 v3, v6, v8
	v_pack_b32_f16 v6, v12, v13
	v_fmac_f16_e32 v7, v26, v14
	v_mul_f16_e32 v8, v51, v11
	v_fma_f16 v9, v27, v11, -v21
	s_wait_loadcnt 0x6
	v_lshrrev_b32_e32 v11, 16, v16
	v_mul_f16_e32 v12, v52, v16
	ds_store_2addr_b32 v5, v3, v6 offset0:9 offset1:12
	v_pack_b32_f16 v3, v7, v10
	v_fmac_f16_e32 v8, v27, v15
	v_mul_f16_e32 v6, v52, v11
	s_wait_loadcnt 0x5
	v_lshrrev_b32_e32 v7, 16, v17
	v_mul_f16_e32 v10, v54, v17
	v_fma_f16 v11, v35, v11, -v12
	v_pack_b32_f16 v8, v8, v9
	v_fmac_f16_e32 v6, v35, v16
	v_mul_f16_e32 v9, v54, v7
	v_fma_f16 v7, v37, v7, -v10
	s_wait_loadcnt 0x4
	v_lshrrev_b32_e32 v10, 16, v18
	v_mul_f16_e32 v12, v55, v18
	ds_store_2addr_b32 v5, v3, v8 offset0:15 offset1:18
	v_pack_b32_f16 v3, v6, v11
	v_fmac_f16_e32 v9, v37, v17
	s_wait_loadcnt 0x3
	v_lshrrev_b32_e32 v6, 16, v19
	v_mul_f16_e32 v11, v56, v19
	v_mul_f16_e32 v8, v55, v10
	v_fma_f16 v10, v38, v10, -v12
	v_pack_b32_f16 v7, v9, v7
	v_mul_f16_e32 v9, v56, v6
	s_wait_loadcnt 0x2
	v_lshrrev_b32_e32 v12, 16, v20
	v_fma_f16 v6, v39, v6, -v11
	v_mul_f16_e32 v11, v58, v20
	s_wait_loadcnt 0x1
	v_lshrrev_b32_e32 v13, 16, v4
	s_wait_loadcnt 0x0
	v_lshrrev_b32_e32 v15, 16, v2
	v_mul_f16_e32 v14, v58, v12
	v_fmac_f16_e32 v8, v38, v18
	v_fma_f16 v11, v41, v12, -v11
	v_mul_f16_e32 v12, v59, v4
	v_mul_f16_e32 v16, v59, v13
	;; [unrolled: 1-line block ×4, first 2 shown]
	v_fmac_f16_e32 v9, v39, v19
	v_fmac_f16_e32 v14, v41, v20
	v_fma_f16 v12, v42, v13, -v12
	v_fmac_f16_e32 v16, v42, v4
	v_fma_f16 v66, v44, v68, -v69
	v_fma_f16 v4, v43, v15, -v17
	v_fmac_f16_e32 v18, v43, v2
	v_pack_b32_f16 v44, v53, v64
	v_pack_b32_f16 v2, v8, v10
	;; [unrolled: 1-line block ×8, first 2 shown]
	ds_store_2addr_b32 v5, v3, v44 offset0:21 offset1:24
	ds_store_2addr_b32 v5, v7, v2 offset0:27 offset1:30
	;; [unrolled: 1-line block ×5, first 2 shown]
.LBB0_3:
	s_or_b32 exec_lo, exec_lo, s3
	s_clause 0x1
	s_load_b64 s[2:3], s[0:1], 0x20
	s_load_b64 s[0:1], s[0:1], 0x8
	v_mov_b32_e32 v22, 0
	global_wb scope:SCOPE_SE
	s_wait_dscnt 0x0
	s_wait_kmcnt 0x0
	s_barrier_signal -1
	s_barrier_wait -1
	global_inv scope:SCOPE_SE
                                        ; implicit-def: $vgpr18
                                        ; implicit-def: $vgpr21
                                        ; implicit-def: $vgpr16
                                        ; implicit-def: $vgpr27
                                        ; implicit-def: $vgpr14
                                        ; implicit-def: $vgpr4
                                        ; implicit-def: $vgpr25
                                        ; implicit-def: $vgpr5
                                        ; implicit-def: $vgpr52
                                        ; implicit-def: $vgpr51
	s_and_saveexec_b32 s4, vcc_lo
	s_cbranch_execz .LBB0_5
; %bb.4:
	v_lshl_add_u32 v2, v32, 2, v28
	ds_load_2addr_b32 v[22:23], v2 offset1:3
	ds_load_2addr_b32 v[24:25], v2 offset0:6 offset1:9
	ds_load_2addr_b32 v[4:5], v2 offset0:42 offset1:45
	;; [unrolled: 1-line block ×7, first 2 shown]
	ds_load_b32 v51, v2 offset:192
	s_wait_dscnt 0x7
	v_alignbit_b32 v52, v24, v24, 16
	s_wait_dscnt 0x6
	v_alignbit_b32 v5, v5, v5, 16
.LBB0_5:
	s_wait_alu 0xfffe
	s_or_b32 exec_lo, exec_lo, s4
	s_wait_dscnt 0x0
	v_pk_add_f16 v36, v23, v51 op_sel:[1,1] op_sel_hi:[0,0] neg_lo:[0,1] neg_hi:[0,1]
	v_pk_add_f16 v56, v51, v23 op_sel:[1,1] op_sel_hi:[0,0]
	v_pk_add_f16 v60, v5, v52
	v_pk_add_f16 v41, v52, v5 neg_lo:[0,1] neg_hi:[0,1]
	v_pk_add_f16 v40, v25, v4 neg_lo:[0,1] neg_hi:[0,1]
	v_mul_f16_e32 v55, 0xb964, v36
	v_lshrrev_b32_e32 v61, 16, v56
	v_mul_f16_e32 v2, 0xbb29, v36
	v_mul_f16_e32 v9, 0xbbf7, v36
	;; [unrolled: 1-line block ×3, first 2 shown]
	v_lshrrev_b32_e32 v62, 16, v60
	v_fmamk_f16 v3, v61, 0x39e9, v55
	v_mul_f16_e32 v57, 0xbbf7, v41
	v_lshrrev_b32_e32 v76, 16, v40
	v_fma_f16 v47, v61, 0x3722, -v2
	v_fmac_f16_e32 v2, 0x3722, v61
	v_mul_f16_e32 v7, 0xba62, v41
	v_fma_f16 v44, v61, 0x2de8, -v9
	v_fma_f16 v49, v61, 0xb461, -v8
	v_fmamk_f16 v70, v62, 0x2de8, v57
	v_mul_f16_e32 v11, 0xb1e1, v41
	v_mul_f16_e32 v10, 0x3836, v41
	v_pk_add_f16 v64, v4, v25
	v_mul_f16_e32 v58, 0xba62, v76
	v_pk_add_f16 v39, v26, v15 neg_lo:[0,1] neg_hi:[0,1]
	v_pk_add_f16 v24, v26, v15
	v_add_f16_e32 v3, v3, v22
	v_fma_f16 v81, v62, 0xb8d2, -v7
	v_fmac_f16_e32 v7, 0xb8d2, v62
	v_fma_f16 v71, v62, 0xbbdd, -v11
	v_mul_f16_e32 v73, 0x31e1, v76
	v_fma_f16 v72, v62, 0xbacd, -v10
	v_fmamk_f16 v75, v64, 0xb8d2, v58
	v_mul_f16_e32 v74, 0x3bb2, v76
	v_mul_f16_e32 v13, 0x3964, v76
	v_lshrrev_b32_e32 v66, 16, v39
	v_mul_f16_e32 v63, 0xbbdd, v24
	v_pk_add_f16 v38, v27, v14 neg_lo:[0,1] neg_hi:[0,1]
	v_pk_add_f16 v35, v27, v14
	v_add_f16_e32 v2, v2, v22
	v_add_f16_e32 v99, v44, v22
	;; [unrolled: 1-line block ×4, first 2 shown]
	v_fmac_f16_e32 v9, 0x2de8, v61
	v_fmac_f16_e32 v8, 0xb461, v61
	v_fma_f16 v79, v64, 0xbbdd, -v73
	v_fmac_f16_e32 v73, 0xbbdd, v64
	v_fma_f16 v78, v64, 0xb461, -v74
	v_mul_f16_e32 v82, 0xb461, v24
	v_fma_f16 v83, v64, 0x39e9, -v13
	v_fmamk_f16 v84, v66, 0xb1e1, v63
	v_mul_f16_e32 v85, 0x3b76, v24
	v_mul_f16_e32 v86, 0x3722, v24
	v_lshrrev_b32_e32 v68, 16, v38
	v_mul_f16_e32 v65, 0xbacd, v35
	v_pk_add_f16 v37, v20, v17 neg_lo:[0,1] neg_hi:[0,1]
	v_pk_add_f16 v43, v20, v17
	v_add_f16_e32 v2, v7, v2
	v_add_f16_e32 v7, v71, v99
	;; [unrolled: 1-line block ×4, first 2 shown]
	v_fmac_f16_e32 v11, 0xbbdd, v62
	v_add_f16_e32 v9, v9, v22
	v_fmac_f16_e32 v10, 0xbacd, v62
	v_add_f16_e32 v8, v8, v22
	v_fmamk_f16 v77, v66, 0xbbb2, v82
	v_mul_f16_e32 v87, 0x39e9, v35
	v_fmac_f16_e32 v82, 0x3bb2, v66
	v_fmamk_f16 v88, v66, 0xb5c8, v85
	v_fmamk_f16 v89, v66, 0x3b29, v86
	;; [unrolled: 1-line block ×3, first 2 shown]
	v_mul_f16_e32 v91, 0x3722, v35
	v_mul_f16_e32 v92, 0xbbdd, v35
	v_lshrrev_b32_e32 v69, 16, v37
	v_mul_f16_e32 v67, 0xb461, v43
	v_pk_add_f16 v80, v21, v16 neg_lo:[0,1] neg_hi:[0,1]
	v_pk_add_f16 v44, v21, v16
	v_add_f16_e32 v2, v73, v2
	v_add_f16_e32 v7, v78, v7
	;; [unrolled: 1-line block ×4, first 2 shown]
	v_fmac_f16_e32 v74, 0xb461, v64
	v_add_f16_e32 v9, v11, v9
	v_fmac_f16_e32 v13, 0x39e9, v64
	v_add_f16_e32 v8, v10, v8
	v_fmamk_f16 v42, v68, 0xb964, v87
	v_fmac_f16_e32 v87, 0x3964, v68
	v_fmamk_f16 v94, v68, 0x3b29, v91
	v_fmamk_f16 v95, v68, 0x31e1, v92
	v_mul_f16_e32 v96, 0xbacd, v43
	v_fmamk_f16 v97, v69, 0x3bb2, v67
	v_mul_f16_e32 v99, 0x2de8, v43
	v_lshrrev_b32_e32 v72, 16, v80
	v_mul_f16_e32 v70, 0x3722, v44
	v_add_f16_e32 v2, v82, v2
	v_add_f16_e32 v7, v88, v7
	;; [unrolled: 1-line block ×5, first 2 shown]
	v_fmac_f16_e32 v85, 0x35c8, v66
	v_add_f16_e32 v8, v13, v8
	v_fmac_f16_e32 v86, 0xbb29, v66
	v_mul_f16_e32 v93, 0x3b76, v43
	v_fmamk_f16 v98, v69, 0x3836, v96
	v_fmamk_f16 v100, v69, 0xbbf7, v99
	;; [unrolled: 1-line block ×3, first 2 shown]
	v_mul_f16_e32 v84, 0xb8d2, v44
	v_pk_add_f16 v49, v18, v19 neg_lo:[0,1] neg_hi:[0,1]
	v_pk_add_f16 v75, v18, v19
	v_add_f16_e32 v2, v87, v2
	v_mul_f16_e32 v87, 0x3b76, v44
	v_add_f16_e32 v7, v94, v7
	v_add_f16_e32 v78, v95, v71
	;; [unrolled: 1-line block ×4, first 2 shown]
	v_fmac_f16_e32 v91, 0xbb29, v68
	v_fmac_f16_e32 v92, 0xb1e1, v68
	v_add_f16_e32 v8, v86, v8
	v_lshrrev_b32_e32 v46, 16, v36
	v_fmamk_f16 v45, v69, 0x35c8, v93
	v_fmac_f16_e32 v93, 0xb5c8, v69
	v_fmamk_f16 v88, v72, 0xba62, v84
	v_lshrrev_b32_e32 v73, 16, v49
	v_mul_f16_e32 v71, 0x3b76, v75
	v_fmamk_f16 v90, v72, 0x35c8, v87
	v_add_f16_e32 v7, v98, v7
	v_add_f16_e32 v94, v100, v78
	;; [unrolled: 1-line block ×3, first 2 shown]
	v_mul_f16_e32 v83, 0x39e9, v75
	v_mul_f16_e32 v95, 0xb8d2, v75
	v_add_f16_e32 v9, v91, v9
	v_add_f16_e32 v8, v92, v8
	v_fmac_f16_e32 v96, 0xb836, v69
	v_fmac_f16_e32 v99, 0x3bf7, v69
	v_mul_f16_e32 v6, 0xbb29, v46
	v_add_f16_e32 v2, v93, v2
	v_fmamk_f16 v93, v73, 0x35c8, v71
	v_add_f16_e32 v7, v88, v7
	v_fmamk_f16 v88, v73, 0xb964, v83
	;; [unrolled: 2-line block ×3, first 2 shown]
	v_mul_f16_e32 v97, 0xbbb2, v46
	v_mul_f16_e32 v11, 0xba62, v36
	;; [unrolled: 1-line block ×4, first 2 shown]
	v_fmac_f16_e32 v84, 0x3a62, v72
	v_add_f16_e32 v9, v96, v9
	v_add_f16_e32 v8, v99, v8
	v_fmac_f16_e32 v87, 0xb5c8, v72
	v_fmamk_f16 v48, v56, 0x3722, v6
	v_add_f16_e32 v3, v93, v3
	v_fma_f16 v93, v56, 0x3722, -v6
	v_add_f16_e32 v6, v88, v7
	v_add_f16_e32 v7, v94, v90
	v_fmamk_f16 v90, v56, 0xb461, v97
	v_fma_f16 v94, v56, 0xb461, -v97
	v_fma_f16 v97, v61, 0xb8d2, -v11
	v_fmamk_f16 v98, v56, 0xb8d2, v10
	v_fmac_f16_e32 v11, 0xb8d2, v61
	v_fma_f16 v85, v56, 0xb8d2, -v10
	v_fma_f16 v10, v61, 0xbacd, -v13
	v_fmac_f16_e32 v13, 0xbacd, v61
	v_mul_f16_e32 v92, 0x3bb2, v41
	v_add_f16_e32 v9, v84, v9
	v_fmac_f16_e32 v83, 0x3964, v73
	v_fmac_f16_e32 v95, 0xba62, v73
	v_add_f16_e32 v8, v87, v8
	v_mul_f16_e32 v87, 0x3b29, v41
	v_fma_f16 v84, v62, 0xb461, -v92
	v_fmac_f16_e32 v92, 0xb461, v62
	v_add_f16_e32 v96, v97, v22
	v_add_f16_e32 v9, v83, v9
	v_add_f16_e32 v8, v95, v8
	v_fma_f16 v83, v62, 0x3722, -v87
	v_fmac_f16_e32 v87, 0x3722, v62
	v_mul_f16_e32 v95, 0xb5c8, v76
	v_add_f16_e32 v11, v11, v22
	v_add_f16_e32 v13, v13, v22
	;; [unrolled: 1-line block ×3, first 2 shown]
	v_mul_f16_e32 v96, 0xbbf7, v76
	v_add_f16_e32 v10, v10, v22
	v_add_f16_e32 v11, v92, v11
	v_fma_f16 v92, v64, 0x3b76, -v95
	v_fmac_f16_e32 v95, 0x3b76, v64
	v_add_f16_e32 v13, v87, v13
	v_mul_f16_e32 v87, 0xbacd, v24
	v_add_f16_e32 v10, v83, v10
	v_fma_f16 v83, v64, 0x2de8, -v96
	v_fmac_f16_e32 v96, 0x2de8, v64
	v_add_f16_e32 v84, v92, v84
	v_mul_f16_e32 v92, 0xb8d2, v24
	v_add_f16_e32 v11, v95, v11
	v_fmamk_f16 v95, v66, 0x3836, v87
	v_fmac_f16_e32 v87, 0xb836, v66
	v_add_f16_e32 v10, v83, v10
	v_fmamk_f16 v83, v66, 0xba62, v92
	v_add_f16_e32 v13, v96, v13
	v_mul_f16_e32 v96, 0x2de8, v35
	v_fmac_f16_e32 v92, 0x3a62, v66
	v_add_f16_e32 v84, v95, v84
	v_mul_f16_e32 v95, 0x3b76, v35
	v_add_f16_e32 v11, v87, v11
	v_fmamk_f16 v87, v68, 0xbbf7, v96
	v_fmac_f16_e32 v96, 0x3bf7, v68
	v_add_f16_e32 v10, v83, v10
	v_fmamk_f16 v83, v68, 0x35c8, v95
	v_add_f16_e32 v13, v92, v13
	v_mul_f16_e32 v92, 0x39e9, v43
	v_fmac_f16_e32 v95, 0xb5c8, v68
	v_add_f16_e32 v84, v87, v84
	v_mul_f16_e32 v87, 0xbbdd, v43
	v_add_f16_e32 v11, v96, v11
	v_fmamk_f16 v96, v69, 0x3964, v92
	v_fmac_f16_e32 v92, 0xb964, v69
	v_add_f16_e32 v13, v95, v13
	v_mul_f16_e32 v95, 0xbbdd, v44
	v_add_f16_e32 v10, v83, v10
	v_fmamk_f16 v83, v69, 0x31e1, v87
	;; [unrolled: 5-line block ×3, first 2 shown]
	v_mul_f16_e32 v101, 0x2de8, v44
	v_fmac_f16_e32 v95, 0xb1e1, v72
	v_add_f16_e32 v10, v83, v10
	v_fmamk_f16 v83, v72, 0xb964, v96
	v_add_f16_e32 v13, v87, v13
	v_mul_f16_e32 v87, 0x3722, v75
	v_add_f16_e32 v84, v92, v84
	v_mul_f16_e32 v92, 0xb461, v75
	v_mul_f16_e32 v53, 0xb5c8, v36
	v_mul_f16_e32 v59, 0xb964, v46
	v_fmamk_f16 v82, v72, 0x3bf7, v101
	v_fmac_f16_e32 v101, 0xbbf7, v72
	v_mul_f16_e32 v89, 0xbacd, v75
	v_mul_f16_e32 v74, 0xb836, v46
	v_fmac_f16_e32 v96, 0x3964, v72
	v_add_f16_e32 v95, v95, v11
	v_fmamk_f16 v11, v73, 0xbb29, v87
	v_add_f16_e32 v83, v83, v10
	v_fmamk_f16 v97, v73, 0x3bb2, v92
	v_lshrrev_b32_e32 v99, 16, v41
	v_lshrrev_b32_e32 v54, 16, v22
	v_fmamk_f16 v12, v61, 0x3b76, v53
	v_fma_f16 v50, v56, 0x39e9, -v59
	v_fmamk_f16 v78, v73, 0x3836, v89
	v_add_f16_e32 v2, v101, v2
	v_fmac_f16_e32 v89, 0xb836, v73
	v_fmamk_f16 v86, v56, 0xbacd, v74
	v_fma_f16 v91, v56, 0xbacd, -v74
	v_mul_f16_e32 v74, 0xb964, v41
	v_add_f16_e32 v96, v96, v13
	v_fmac_f16_e32 v87, 0x3b29, v73
	v_fmac_f16_e32 v92, 0xbbb2, v73
	v_add_f16_e32 v10, v11, v84
	v_add_f16_e32 v11, v97, v83
	v_mul_f16_e32 v83, 0xbbf7, v99
	v_add_f16_e32 v2, v89, v2
	v_mul_f16_e32 v89, 0xbbf7, v46
	v_fmamk_f16 v84, v62, 0x39e9, v74
	v_add_f16_e32 v97, v12, v22
	v_add_f16_e32 v13, v87, v95
	;; [unrolled: 1-line block ×3, first 2 shown]
	v_mul_f16_e32 v87, 0xba62, v99
	v_fma_f16 v92, v60, 0x2de8, -v83
	v_add_f16_e32 v50, v50, v54
	v_fmamk_f16 v88, v56, 0x2de8, v89
	v_add_f16_e32 v95, v84, v97
	v_fmamk_f16 v84, v60, 0xb8d2, v87
	v_add_f16_e32 v47, v47, v22
	v_add_f16_e32 v48, v48, v54
	;; [unrolled: 1-line block ×3, first 2 shown]
	v_mul_f16_e32 v92, 0xb1e1, v99
	v_fma_f16 v87, v60, 0xb8d2, -v87
	v_add_f16_e32 v47, v81, v47
	v_mul_f16_e32 v81, 0x3836, v99
	v_add_f16_e32 v93, v93, v54
	v_add_f16_e32 v48, v84, v48
	v_fmamk_f16 v84, v60, 0xbbdd, v92
	v_add_f16_e32 v88, v88, v54
	v_add_f16_e32 v90, v90, v54
	v_add_f16_e32 v87, v87, v93
	v_fmamk_f16 v93, v60, 0xbacd, v81
	v_fma_f16 v81, v60, 0xbacd, -v81
	v_add_f16_e32 v88, v84, v88
	v_mul_f16_e32 v84, 0x3bb2, v99
	v_add_f16_e32 v94, v94, v54
	v_fma_f16 v89, v56, 0x2de8, -v89
	v_add_f16_e32 v90, v93, v90
	v_add_f16_e32 v96, v98, v54
	v_fmamk_f16 v93, v60, 0xb461, v84
	v_add_f16_e32 v94, v81, v94
	v_mul_f16_e32 v81, 0x3b29, v99
	v_fma_f16 v84, v60, 0xb461, -v84
	v_add_f16_e32 v85, v85, v54
	v_pk_mul_f16 v102, 0xb5c8b1e1, v36
	v_mul_f16_e32 v46, 0xb1e1, v46
	v_fma_f16 v92, v60, 0xbbdd, -v92
	v_add_f16_e32 v89, v89, v54
	v_add_f16_e32 v36, v93, v96
	v_fmamk_f16 v93, v60, 0x3722, v81
	v_fma_f16 v96, v60, 0x3722, -v81
	v_add_f16_e32 v97, v84, v85
	v_pk_fma_f16 v84, 0xbbdd3b76, v56, v102 op_sel:[0,0,1] op_sel_hi:[1,1,0] neg_lo:[0,0,1] neg_hi:[0,0,1]
	v_add_f16_e32 v85, v86, v54
	v_pk_mul_f16 v81, 0xb96435c8, v41
	v_add_f16_e32 v89, v92, v89
	v_fma_f16 v92, v56, 0xbbdd, -v46
	v_mul_f16_e32 v103, 0x35c8, v99
	v_add_f16_e32 v41, v91, v54
	v_pk_add_f16 v91, v84, v22 op_sel:[0,1] op_sel_hi:[1,0]
	v_add_f16_e32 v93, v93, v85
	v_pk_fma_f16 v85, 0x3b7639e9, v60, v81 op_sel:[0,0,1] op_sel_hi:[1,1,0] neg_lo:[0,0,1] neg_hi:[0,0,1]
	v_lshrrev_b32_e32 v86, 16, v64
	v_mul_f16_e32 v84, 0xba62, v40
	v_mul_f16_e32 v76, 0xbb29, v76
	v_add_f16_e32 v41, v96, v41
	v_fma_f16 v96, v60, 0x3b76, -v103
	v_add_f16_e32 v92, v92, v54
	v_pk_add_f16 v91, v85, v91
	v_fma_f16 v85, v86, 0xb8d2, -v84
	v_mul_f16_e32 v99, 0x31e1, v40
	v_fmamk_f16 v98, v64, 0x3722, v76
	v_add_f16_e32 v92, v96, v92
	v_mul_f16_e32 v96, 0x3bb2, v40
	v_add_f16_e32 v50, v85, v50
	v_fmamk_f16 v85, v86, 0xbbdd, v99
	v_add_f16_e32 v47, v79, v47
	v_fma_f16 v79, v86, 0xbbdd, -v99
	v_mul_f16_e32 v99, 0x3964, v40
	v_add_f16_e32 v95, v98, v95
	v_fmamk_f16 v98, v86, 0xb461, v96
	v_add_f16_e32 v48, v85, v48
	v_fma_f16 v85, v86, 0xb461, -v96
	v_add_f16_e32 v96, v79, v87
	v_fmamk_f16 v79, v86, 0x39e9, v99
	v_mul_f16_e32 v87, 0xb5c8, v40
	v_add_f16_e32 v88, v98, v88
	v_add_f16_e32 v89, v85, v89
	v_mul_f16_e32 v98, 0xbbf7, v40
	v_fma_f16 v85, v86, 0x39e9, -v99
	v_add_f16_e32 v99, v79, v90
	v_fmamk_f16 v79, v86, 0x3b76, v87
	v_fma_f16 v87, v86, 0x3b76, -v87
	v_fmamk_f16 v90, v86, 0x2de8, v98
	v_add_f16_e32 v94, v85, v94
	v_pk_mul_f16 v85, 0xb836bb29, v40
	v_add_f16_e32 v36, v79, v36
	v_fma_f16 v98, v86, 0x2de8, -v98
	v_mul_f16_e32 v40, 0xb836, v40
	v_mul_f16_e32 v79, 0x2de8, v24
	v_add_f16_e32 v97, v87, v97
	v_add_f16_e32 v93, v90, v93
	v_pk_fma_f16 v100, 0x3722bacd, v64, v85 op_sel:[0,0,1] op_sel_hi:[1,1,0] neg_lo:[0,0,1] neg_hi:[0,0,1]
	v_lshrrev_b32_e32 v90, 16, v24
	v_mul_f16_e32 v87, 0xb1e1, v39
	v_add_f16_e32 v41, v98, v41
	v_fma_f16 v98, v86, 0xbacd, -v40
	v_fmamk_f16 v101, v66, 0xbbf7, v79
	v_pk_add_f16 v100, v100, v91 op_sel:[1,0] op_sel_hi:[0,1]
	v_fma_f16 v91, v90, 0xbbdd, -v87
	v_mul_f16_e32 v104, 0x3bb2, v39
	v_add_f16_e32 v92, v98, v92
	v_add_f16_e32 v98, v101, v95
	v_mul_f16_e32 v95, 0x35c8, v39
	v_add_f16_e32 v50, v91, v50
	v_fmamk_f16 v91, v90, 0xb461, v104
	v_add_f16_e32 v47, v77, v47
	v_fma_f16 v77, v90, 0xb461, -v104
	v_fmamk_f16 v101, v90, 0x3b76, v95
	v_mul_f16_e32 v104, 0xbb29, v39
	v_add_f16_e32 v48, v91, v48
	v_fma_f16 v91, v90, 0x3b76, -v95
	v_add_f16_e32 v96, v77, v96
	v_add_f16_e32 v101, v101, v88
	v_fmamk_f16 v77, v90, 0x3722, v104
	v_mul_f16_e32 v88, 0xb836, v39
	v_add_f16_e32 v89, v91, v89
	v_fma_f16 v91, v90, 0x3722, -v104
	v_mul_f16_e32 v95, 0x3a62, v39
	v_add_f16_e32 v99, v77, v99
	v_fmamk_f16 v77, v90, 0xbacd, v88
	v_fma_f16 v88, v90, 0xbacd, -v88
	v_add_f16_e32 v94, v91, v94
	v_fmamk_f16 v91, v90, 0xb8d2, v95
	v_fma_f16 v95, v90, 0xb8d2, -v95
	v_add_f16_e32 v36, v77, v36
	v_add_f16_e32 v97, v88, v97
	v_pk_mul_f16 v88, 0x3964bbf7, v39
	v_mul_f16_e32 v104, 0x3964, v39
	v_mul_f16_e32 v77, 0xb461, v35
	v_add_f16_e32 v41, v95, v41
	v_lshrrev_b32_e32 v95, 16, v35
	v_pk_fma_f16 v39, 0x2de839e9, v24, v88 op_sel:[0,0,1] op_sel_hi:[1,1,0] neg_lo:[0,0,1] neg_hi:[0,0,1]
	v_fma_f16 v105, v90, 0x39e9, -v104
	v_fmamk_f16 v106, v68, 0xbbb2, v77
	v_add_f16_e32 v93, v91, v93
	v_mul_f16_e32 v91, 0x3836, v38
	v_pk_add_f16 v39, v39, v100 op_sel:[1,0] op_sel_hi:[0,1]
	v_mul_f16_e32 v100, 0x3964, v38
	v_add_f16_e32 v105, v105, v92
	v_add_f16_e32 v106, v106, v98
	v_mul_f16_e32 v92, 0xbb29, v38
	v_fma_f16 v107, v95, 0xbacd, -v91
	v_fmamk_f16 v98, v95, 0x39e9, v100
	v_fma_f16 v100, v95, 0x39e9, -v100
	v_add_f16_e32 v42, v42, v47
	v_fmamk_f16 v47, v95, 0x3722, v92
	v_fma_f16 v92, v95, 0x3722, -v92
	v_add_f16_e32 v48, v98, v48
	v_add_f16_e32 v96, v100, v96
	v_mul_f16_e32 v98, 0xb1e1, v38
	v_mul_f16_e32 v100, 0x3bf7, v38
	v_add_f16_e32 v50, v107, v50
	v_add_f16_e32 v47, v47, v101
	;; [unrolled: 1-line block ×3, first 2 shown]
	v_mul_f16_e32 v89, 0xb5c8, v38
	v_fmamk_f16 v92, v95, 0xbbdd, v98
	v_fmamk_f16 v107, v95, 0x2de8, v100
	v_fma_f16 v100, v95, 0x2de8, -v100
	v_fma_f16 v98, v95, 0xbbdd, -v98
	v_fmamk_f16 v108, v95, 0x3b76, v89
	v_add_f16_e32 v99, v92, v99
	v_add_f16_e32 v36, v107, v36
	;; [unrolled: 1-line block ×3, first 2 shown]
	v_fma_f16 v100, v95, 0x3b76, -v89
	v_pk_mul_f16 v92, 0xba62bbb2, v38
	v_mul_f16_e32 v107, 0xba62, v38
	v_mul_f16_e32 v89, 0xb8d2, v43
	v_add_f16_e32 v109, v98, v94
	v_add_f16_e32 v93, v108, v93
	v_lshrrev_b32_e32 v98, 16, v43
	v_mul_f16_e32 v94, 0x3bb2, v37
	v_pk_fma_f16 v38, 0xb461b8d2, v35, v92 op_sel:[0,0,1] op_sel_hi:[1,1,0] neg_lo:[0,0,1] neg_hi:[0,0,1]
	v_add_f16_e32 v41, v100, v41
	v_fma_f16 v100, v95, 0xb8d2, -v107
	v_fmamk_f16 v108, v69, 0xba62, v89
	v_fma_f16 v110, v98, 0xb461, -v94
	v_pk_add_f16 v38, v38, v39 op_sel:[1,0] op_sel_hi:[0,1]
	v_mul_f16_e32 v39, 0xb5c8, v37
	v_add_f16_e32 v100, v100, v105
	v_add_f16_e32 v105, v108, v106
	v_mul_f16_e32 v106, 0xb836, v37
	v_add_f16_e32 v50, v110, v50
	v_fmamk_f16 v108, v98, 0x3b76, v39
	v_add_f16_e32 v42, v45, v42
	v_fma_f16 v39, v98, 0x3b76, -v39
	v_mul_f16_e32 v45, 0x3bf7, v37
	v_fmamk_f16 v110, v98, 0xbacd, v106
	v_fma_f16 v106, v98, 0xbacd, -v106
	v_add_f16_e32 v48, v108, v48
	v_add_f16_e32 v39, v39, v96
	v_fmamk_f16 v96, v98, 0x2de8, v45
	v_mul_f16_e32 v108, 0xb964, v37
	v_add_f16_e32 v106, v106, v101
	v_mul_f16_e32 v101, 0xb1e1, v37
	v_add_f16_e32 v47, v110, v47
	v_add_f16_e32 v99, v96, v99
	v_fma_f16 v45, v98, 0x2de8, -v45
	v_fmamk_f16 v96, v98, 0x39e9, v108
	v_fmamk_f16 v110, v98, 0xbbdd, v101
	v_fma_f16 v101, v98, 0xbbdd, -v101
	v_mul_f16_e32 v113, 0xbbf7, v80
	v_add_f16_e32 v45, v45, v109
	v_add_f16_e32 v36, v96, v36
	;; [unrolled: 1-line block ×3, first 2 shown]
	v_pk_mul_f16 v96, 0x3b29ba62, v37
	v_mul_f16_e32 v110, 0x3b29, v37
	v_add_f16_e32 v41, v101, v41
	v_mul_f16_e32 v93, 0xbacd, v44
	v_lshrrev_b32_e32 v101, 16, v44
	v_pk_fma_f16 v37, 0xb8d23722, v43, v96 op_sel:[0,0,1] op_sel_hi:[1,1,0] neg_lo:[0,0,1] neg_hi:[0,0,1]
	v_fma_f16 v111, v98, 0x3722, -v110
	v_fma_f16 v108, v98, 0x39e9, -v108
	v_fmamk_f16 v112, v72, 0xb836, v93
	v_fmamk_f16 v46, v56, 0xbbdd, v46
	v_pk_add_f16 v37, v37, v38 op_sel:[1,0] op_sel_hi:[0,1]
	v_add_f16_e32 v38, v111, v100
	v_fmamk_f16 v100, v101, 0x2de8, v113
	v_add_f16_e32 v105, v112, v105
	v_mul_f16_e32 v111, 0x3a62, v80
	v_fma_f16 v112, v101, 0x2de8, -v113
	v_add_f16_e32 v113, v82, v42
	v_add_f16_e32 v42, v100, v48
	v_mul_f16_e32 v48, 0xb5c8, v80
	v_add_f16_e32 v108, v108, v97
	v_mul_f16_e32 v97, 0x3b29, v80
	v_fmamk_f16 v82, v101, 0xb8d2, v111
	v_add_f16_e32 v39, v112, v39
	v_fma_f16 v100, v101, 0xb8d2, -v111
	v_mul_f16_e32 v111, 0xb1e1, v80
	v_fmamk_f16 v112, v101, 0x3b76, v48
	v_fma_f16 v114, v101, 0x3722, -v97
	v_add_f16_e32 v47, v82, v47
	v_fma_f16 v48, v101, 0x3b76, -v48
	v_add_f16_e32 v106, v100, v106
	v_fmamk_f16 v100, v101, 0xbbdd, v111
	v_add_f16_e32 v112, v112, v99
	v_mul_f16_e32 v99, 0x3964, v80
	v_pk_mul_f16 v82, 0xbbb2b836, v80
	v_add_f16_e32 v50, v114, v50
	v_add_f16_e32 v48, v48, v45
	;; [unrolled: 1-line block ×3, first 2 shown]
	v_fma_f16 v36, v101, 0xbbdd, -v111
	v_fmamk_f16 v45, v101, 0x39e9, v99
	v_pk_fma_f16 v100, 0xbacdb461, v44, v82 op_sel:[0,0,1] op_sel_hi:[1,1,0] neg_lo:[0,0,1] neg_hi:[0,0,1]
	v_mul_f16_e32 v111, 0xbbb2, v80
	v_fma_f16 v99, v101, 0x39e9, -v99
	v_add_f16_e32 v115, v36, v108
	v_add_f16_e32 v116, v45, v109
	v_pk_add_f16 v118, v100, v37 op_sel:[1,0] op_sel_hi:[0,1]
	v_fma_f16 v36, v101, 0xb461, -v111
	v_lshrrev_b32_e32 v109, 16, v75
	v_mul_f16_e32 v100, 0x35c8, v49
	v_mul_f16_e32 v37, 0xb836, v49
	v_add_f16_e32 v117, v99, v41
	v_mul_f16_e32 v80, 0xbbdd, v75
	v_add_f16_e32 v119, v36, v38
	v_mul_f16_e32 v45, 0x3964, v49
	v_fma_f16 v38, v109, 0x3b76, -v100
	v_fma_f16 v99, v109, 0xbacd, -v37
	v_fmamk_f16 v36, v73, 0xb1e1, v80
	v_fmamk_f16 v41, v109, 0xbacd, v37
	;; [unrolled: 1-line block ×3, first 2 shown]
	v_add_f16_e32 v37, v38, v50
	v_add_f16_e32 v38, v99, v39
	v_fma_f16 v39, v109, 0x39e9, -v45
	v_pk_fma_f16 v99, 0xbbdd3b76, v56, v102 op_sel:[0,0,1] op_sel_hi:[1,1,0]
	v_mul_f16_e32 v45, 0x3b76, v60
	v_pk_mul_f16 v102, 0x3b7639e9, v60
	v_add_f16_e32 v36, v36, v105
	v_add_f16_e32 v42, v41, v42
	;; [unrolled: 1-line block ×3, first 2 shown]
	v_mul_f16_e32 v47, 0xba62, v49
	v_bfi_b32 v50, 0xffff, v103, v99
	v_perm_b32 v45, v22, v45, 0x5040100
	v_bfi_b32 v46, 0xffff, v46, v102
	v_alignbit_b32 v105, v81, v22, 16
	v_pk_mul_f16 v103, 0x3722bacd, v64
	v_mul_f16_e32 v108, 0xbacd, v86
	v_add_f16_e32 v39, v39, v106
	v_fmamk_f16 v106, v109, 0xb8d2, v47
	v_pk_add_f16 v50, v50, v45
	v_pk_add_f16 v46, v46, v105
	v_pack_b32_f16 v40, v40, v103
	v_bfi_b32 v105, 0xffff, v108, v85
	v_fma_f16 v47, v109, 0xb8d2, -v47
	v_add_f16_e32 v45, v106, v112
	v_pk_add_f16 v46, v46, v50
	v_mul_f16_e32 v50, 0x39e9, v90
	v_pk_mul_f16 v106, 0x2de839e9, v24
	v_pk_add_f16 v24, v40, v105
	v_add_f16_e32 v40, v47, v48
	v_mul_f16_e32 v48, 0x3b29, v49
	v_bfi_b32 v47, 0xffff, v50, v88
	v_pack_b32_f16 v50, v104, v106
	v_mul_f16_e32 v105, 0xb8d2, v95
	v_pk_mul_f16 v104, 0xb461b8d2, v35
	v_fmamk_f16 v35, v109, 0x3722, v48
	v_pk_add_f16 v24, v24, v46
	v_pk_add_f16 v46, v47, v50
	v_bfi_b32 v50, 0xffff, v105, v92
	v_pack_b32_f16 v105, v107, v104
	v_add_f16_e32 v47, v35, v114
	v_mul_f16_e32 v35, 0x3722, v98
	v_pk_mul_f16 v107, 0xb8d23722, v43
	v_pk_add_f16 v24, v46, v24
	v_pk_add_f16 v43, v50, v105
	v_fma_f16 v46, v109, 0x3722, -v48
	v_bfi_b32 v35, 0xffff, v35, v96
	v_pack_b32_f16 v48, v110, v107
	v_mul_f16_e32 v50, 0xb461, v101
	v_pk_mul_f16 v108, 0xbacdb461, v44
	v_add_f16_e32 v44, v46, v115
	v_pk_add_f16 v24, v43, v24
	v_pk_add_f16 v35, v35, v48
	v_bfi_b32 v43, 0xffff, v50, v82
	v_pack_b32_f16 v46, v111, v108
	v_pk_mul_f16 v110, 0x3bf7b1e1, v49
	v_mul_f16_e32 v48, 0x3bf7, v49
	v_mul_f16_e32 v50, 0x2de8, v109
	v_pk_mul_f16 v105, 0xbbdd2de8, v75
	v_mul_f16_e32 v49, 0xbbb2, v49
	v_pk_add_f16 v24, v35, v24
	v_pk_add_f16 v35, v43, v46
	v_bfi_b32 v43, 0xffff, v50, v110
	v_pack_b32_f16 v46, v48, v105
	v_fmamk_f16 v50, v109, 0xb461, v49
	v_fma_f16 v49, v109, 0xb461, -v49
	v_pk_add_f16 v24, v35, v24
	v_pk_fma_f16 v35, 0xbbdd2de8, v75, v110 op_sel:[0,0,1] op_sel_hi:[1,1,0] neg_lo:[0,0,1] neg_hi:[0,0,1]
	v_pk_add_f16 v75, v43, v46
	v_fma_f16 v48, v109, 0x2de8, -v48
	v_add_f16_e32 v50, v50, v116
	v_add_f16_e32 v46, v49, v117
	v_pk_add_f16 v43, v35, v118 op_sel:[1,0] op_sel_hi:[0,1]
	v_pk_add_f16 v49, v75, v24
	v_add_f16_e32 v48, v48, v119
	v_add_f16_e32 v24, v78, v113
	v_mul_lo_u16 v35, v33, 17
	global_wb scope:SCOPE_SE
	s_barrier_signal -1
	s_barrier_wait -1
	global_inv scope:SCOPE_SE
	s_and_saveexec_b32 s4, vcc_lo
	s_cbranch_execz .LBB0_7
; %bb.6:
	v_mul_f16_e32 v56, 0x39e9, v56
	v_mul_f16_e32 v60, 0x2de8, v60
	;; [unrolled: 1-line block ×5, first 2 shown]
	v_add_f16_e32 v56, v59, v56
	v_mul_f16_e32 v90, 0xbbdd, v90
	v_mul_f16_e32 v78, 0x39e9, v62
	;; [unrolled: 1-line block ×4, first 2 shown]
	v_add_f16_e32 v54, v56, v54
	v_add_f16_e32 v56, v83, v60
	v_sub_f16_e32 v55, v61, v55
	v_mul_f16_e32 v111, 0x3722, v64
	v_mul_f16_e32 v64, 0xb8d2, v64
	;; [unrolled: 1-line block ×3, first 2 shown]
	v_add_f16_e32 v54, v56, v54
	v_add_f16_e32 v56, v84, v86
	v_alignbit_b32 v84, v22, v22, 16
	v_add_f16_e32 v22, v55, v22
	v_sub_f16_e32 v55, v62, v57
	v_mul_f16_e32 v112, 0xbbf7, v66
	v_add_f16_e32 v54, v56, v54
	v_pk_add_f16 v23, v23, v84 op_sel:[0,1] op_sel_hi:[1,0]
	v_add_f16_e32 v56, v90, v87
	v_mul_f16_e32 v66, 0xb1e1, v66
	v_mul_f16_e32 v83, 0x3722, v101
	v_add_f16_e32 v22, v55, v22
	v_pk_add_f16 v23, v52, v23 op_sel:[1,0] op_sel_hi:[0,1]
	v_add_f16_e32 v54, v56, v54
	v_add_f16_e32 v56, v59, v91
	v_sub_f16_e32 v55, v64, v58
	v_mul_f16_e32 v113, 0xbbb2, v68
	v_pk_add_f16 v23, v25, v23
	v_mul_f16_e32 v68, 0x3836, v68
	v_add_f16_e32 v54, v56, v54
	v_add_f16_e32 v56, v98, v94
	v_mul_f16_e32 v61, 0x3b76, v109
	v_pk_add_f16 v23, v26, v23
	v_add_f16_e32 v22, v55, v22
	v_sub_f16_e32 v52, v63, v66
	v_add_f16_e32 v54, v56, v54
	v_add_f16_e32 v25, v83, v97
	v_pk_add_f16 v23, v27, v23
	v_mul_f16_e32 v95, 0xba62, v69
	v_mul_f16_e32 v69, 0x3bb2, v69
	v_alignbit_b32 v57, v81, v81, 16
	v_alignbit_b32 v62, v85, v85, 16
	v_pk_add_f16 v20, v20, v23
	v_add_f16_e32 v22, v52, v22
	v_sub_f16_e32 v52, v65, v68
	v_add_f16_e32 v25, v25, v54
	v_add_f16_e32 v26, v61, v100
	v_pk_add_f16 v20, v21, v20
	v_sub_f16_e32 v21, v75, v53
	v_alignbit_b32 v58, v88, v88, 16
	v_add_f16_e32 v22, v52, v22
	v_sub_f16_e32 v52, v67, v69
	v_add_f16_e32 v25, v26, v25
	v_lshrrev_b32_e32 v23, 16, v103
	v_lshrrev_b32_e32 v26, 16, v62
	v_pk_add_f16 v53, v57, v102
	v_pk_add_f16 v18, v18, v20
	v_perm_b32 v20, v21, v99, 0x5040100
	v_sub_f16_e32 v21, v78, v74
	v_alignbit_b32 v55, v92, v92, 16
	v_add_f16_e32 v22, v52, v22
	v_lshrrev_b32_e32 v52, 16, v58
	v_lshrrev_b32_e32 v58, 16, v106
	v_add_f16_e32 v23, v26, v23
	v_pk_add_f16 v18, v19, v18
	v_pk_add_f16 v19, v20, v84
	v_pack_b32_f16 v20, v53, v21
	v_sub_f16_e32 v21, v111, v76
	v_alignbit_b32 v56, v96, v96, 16
	v_add_f16_e32 v26, v58, v52
	v_lshrrev_b32_e32 v52, 16, v55
	v_lshrrev_b32_e32 v55, 16, v104
	v_pk_add_f16 v16, v16, v18
	v_pk_add_f16 v18, v20, v19
	v_pack_b32_f16 v19, v23, v21
	v_sub_f16_e32 v20, v79, v112
	v_alignbit_b32 v27, v82, v82, 16
	v_lshrrev_b32_e32 v53, 16, v56
	v_lshrrev_b32_e32 v56, 16, v107
	v_add_f16_e32 v21, v55, v52
	v_pk_add_f16 v16, v17, v16
	v_pk_add_f16 v17, v19, v18
	v_pack_b32_f16 v18, v26, v20
	v_sub_f16_e32 v19, v77, v113
	v_mul_f16_e32 v60, 0xb836, v72
	v_mul_f16_e32 v101, 0xb1e1, v73
	v_alignbit_b32 v54, v110, v110, 16
	v_add_f16_e32 v23, v56, v53
	v_lshrrev_b32_e32 v20, 16, v27
	v_lshrrev_b32_e32 v26, 16, v108
	v_pk_add_f16 v14, v14, v16
	v_pk_add_f16 v16, v18, v17
	v_pack_b32_f16 v17, v21, v19
	v_sub_f16_e32 v18, v89, v95
	v_mul_f16_e32 v72, 0x3b29, v72
	v_add_f16_e32 v20, v26, v20
	v_pk_add_f16 v14, v15, v14
	v_pk_add_f16 v15, v17, v16
	v_pack_b32_f16 v16, v23, v18
	v_sub_f16_e32 v17, v93, v60
	v_bfi_b32 v18, 0xffff, v101, v54
	v_mul_f16_e32 v73, 0x35c8, v73
	v_sub_f16_e32 v19, v70, v72
	v_pk_add_f16 v4, v4, v14
	v_pk_add_f16 v14, v16, v15
	v_pack_b32_f16 v15, v20, v17
	v_pk_add_f16 v16, v80, v18 neg_lo:[0,1] neg_hi:[0,1]
	v_pk_add_f16 v17, v105, v54
	v_add_f16_e32 v19, v19, v22
	v_sub_f16_e32 v18, v71, v73
	v_and_b32_e32 v20, 0xffff, v35
	v_pk_add_f16 v4, v5, v4 op_sel:[1,0] op_sel_hi:[0,1]
	v_pk_add_f16 v5, v15, v14
	v_bfi_b32 v14, 0xffff, v16, v17
	v_add_f16_e32 v15, v18, v19
	v_add_lshl_u32 v16, v32, v20, 2
	v_pk_add_f16 v4, v51, v4
	v_perm_b32 v17, v45, v7, 0x5040100
	v_pk_add_f16 v5, v14, v5 op_sel:[0,1] op_sel_hi:[1,0]
	v_pack_b32_f16 v14, v15, v25
	v_perm_b32 v15, v42, v24, 0x5040100
	v_perm_b32 v18, v41, v6, 0x5040100
	;; [unrolled: 1-line block ×4, first 2 shown]
	ds_store_2addr_b32 v16, v4, v5 offset1:1
	ds_store_2addr_b32 v16, v14, v15 offset0:2 offset1:3
	ds_store_2addr_b32 v16, v18, v17 offset0:4 offset1:5
	;; [unrolled: 1-line block ×3, first 2 shown]
	v_alignbit_b32 v4, v48, v49, 16
	v_alignbit_b32 v5, v49, v43, 16
	v_perm_b32 v14, v44, v13, 0x5040100
	v_perm_b32 v15, v46, v12, 0x5040100
	;; [unrolled: 1-line block ×7, first 2 shown]
	ds_store_2addr_b32 v16, v5, v4 offset0:8 offset1:9
	ds_store_2addr_b32 v16, v15, v14 offset0:10 offset1:11
	;; [unrolled: 1-line block ×4, first 2 shown]
	ds_store_b32 v16, v21 offset:64
.LBB0_7:
	s_wait_alu 0xfffe
	s_or_b32 exec_lo, exec_lo, s4
	v_lshlrev_b32_e32 v4, 3, v33
	s_load_b128 s[4:7], s[2:3], 0x0
	global_wb scope:SCOPE_SE
	s_wait_dscnt 0x0
	s_wait_kmcnt 0x0
	s_barrier_signal -1
	s_barrier_wait -1
	global_inv scope:SCOPE_SE
	global_load_b64 v[4:5], v4, s[0:1]
	v_add_lshl_u32 v21, v32, v33, 2
	ds_load_2addr_b32 v[16:17], v21 offset1:17
	ds_load_b32 v14, v21 offset:136
	s_wait_dscnt 0x1
	v_lshrrev_b32_e32 v15, 16, v17
	s_wait_dscnt 0x0
	v_lshrrev_b32_e32 v18, 16, v14
	v_lshrrev_b32_e32 v54, 16, v16
	s_wait_loadcnt 0x0
	v_lshrrev_b32_e32 v19, 16, v4
	v_lshrrev_b32_e32 v20, 16, v5
	s_delay_alu instid0(VALU_DEP_2) | instskip(NEXT) | instid1(VALU_DEP_2)
	v_mul_f16_e32 v22, v15, v19
	v_mul_f16_e32 v23, v18, v20
	;; [unrolled: 1-line block ×4, first 2 shown]
	s_delay_alu instid0(VALU_DEP_4) | instskip(NEXT) | instid1(VALU_DEP_4)
	v_fma_f16 v17, v17, v4, -v22
	v_fma_f16 v14, v14, v5, -v23
	s_delay_alu instid0(VALU_DEP_4) | instskip(NEXT) | instid1(VALU_DEP_4)
	v_fmac_f16_e32 v25, v15, v4
	v_fmac_f16_e32 v26, v18, v5
	s_delay_alu instid0(VALU_DEP_4) | instskip(NEXT) | instid1(VALU_DEP_4)
	v_add_f16_e32 v18, v16, v17
	v_add_f16_e32 v15, v17, v14
	v_sub_f16_e32 v17, v17, v14
	s_delay_alu instid0(VALU_DEP_4)
	v_add_f16_e32 v22, v25, v26
	v_sub_f16_e32 v23, v25, v26
	v_add_f16_e32 v25, v54, v25
	v_fmac_f16_e32 v16, -0.5, v15
	v_add_f16_e32 v14, v18, v14
	v_fmac_f16_e32 v54, -0.5, v22
	v_lshl_add_u32 v18, v33, 2, v34
	v_add_f16_e32 v22, v25, v26
	v_fmamk_f16 v15, v23, 0x3aee, v16
	v_fmac_f16_e32 v16, 0xbaee, v23
	v_fmamk_f16 v63, v17, 0xbaee, v54
	v_fmac_f16_e32 v54, 0x3aee, v17
	v_pack_b32_f16 v17, v14, v22
	s_delay_alu instid0(VALU_DEP_3) | instskip(NEXT) | instid1(VALU_DEP_3)
	v_pack_b32_f16 v23, v15, v63
	v_pack_b32_f16 v25, v16, v54
	ds_store_2addr_b32 v18, v17, v23 offset1:17
	ds_store_b32 v18, v25 offset:136
	global_wb scope:SCOPE_SE
	s_wait_dscnt 0x0
	s_barrier_signal -1
	s_barrier_wait -1
	global_inv scope:SCOPE_SE
	s_and_saveexec_b32 s2, vcc_lo
	s_cbranch_execz .LBB0_9
; %bb.8:
	s_add_nc_u64 s[0:1], s[12:13], 0xcc
	s_clause 0x10
	global_load_b32 v17, v28, s[12:13] offset:204
	global_load_b32 v23, v28, s[0:1] offset:12
	;; [unrolled: 1-line block ×17, first 2 shown]
	ds_load_2addr_b32 v[25:26], v18 offset1:3
	ds_load_2addr_b32 v[51:52], v18 offset0:6 offset1:9
	ds_load_2addr_b32 v[55:56], v18 offset0:12 offset1:15
	ds_load_2addr_b32 v[57:58], v18 offset0:18 offset1:21
	ds_load_2addr_b32 v[59:60], v18 offset0:24 offset1:27
	ds_load_2addr_b32 v[61:62], v18 offset0:30 offset1:33
	ds_load_2addr_b32 v[64:65], v18 offset0:36 offset1:39
	ds_load_2addr_b32 v[66:67], v18 offset0:42 offset1:45
	ds_load_b32 v81, v18 offset:192
	s_wait_dscnt 0x8
	v_lshrrev_b32_e32 v82, 16, v25
	v_lshrrev_b32_e32 v83, 16, v26
	s_wait_dscnt 0x7
	v_lshrrev_b32_e32 v84, 16, v51
	v_lshrrev_b32_e32 v85, 16, v52
	;; [unrolled: 3-line block ×8, first 2 shown]
	s_wait_dscnt 0x0
	v_lshrrev_b32_e32 v98, 16, v81
	s_wait_loadcnt 0x10
	v_lshrrev_b32_e32 v99, 16, v17
	s_wait_loadcnt 0xf
	;; [unrolled: 2-line block ×17, first 2 shown]
	v_lshrrev_b32_e32 v115, 16, v80
	v_mul_f16_e32 v116, v82, v99
	v_mul_f16_e32 v99, v25, v99
	;; [unrolled: 1-line block ×24, first 2 shown]
	v_mul_f16_e64 v128, v94, v111
	v_mul_f16_e32 v111, v64, v111
	v_mul_f16_e64 v129, v95, v112
	v_mul_f16_e32 v112, v65, v112
	;; [unrolled: 2-line block ×5, first 2 shown]
	v_fma_f16 v25, v25, v17, -v116
	v_fmac_f16_e32 v99, v82, v17
	v_fma_f16 v17, v26, v23, -v117
	v_fmac_f16_e32 v100, v83, v23
	;; [unrolled: 2-line block ×17, first 2 shown]
	v_pack_b32_f16 v25, v25, v99
	v_pack_b32_f16 v17, v17, v100
	;; [unrolled: 1-line block ×17, first 2 shown]
	ds_store_2addr_b32 v18, v25, v17 offset1:3
	ds_store_2addr_b32 v18, v23, v26 offset0:6 offset1:9
	ds_store_2addr_b32 v18, v27, v51 offset0:12 offset1:15
	;; [unrolled: 1-line block ×7, first 2 shown]
	ds_store_b32 v18, v64 offset:192
.LBB0_9:
	s_wait_alu 0xfffe
	s_or_b32 exec_lo, exec_lo, s2
	v_lshrrev_b32_e32 v17, 16, v49
	global_wb scope:SCOPE_SE
	s_wait_dscnt 0x0
	s_barrier_signal -1
	s_barrier_wait -1
	global_inv scope:SCOPE_SE
	s_and_saveexec_b32 s0, vcc_lo
	s_cbranch_execz .LBB0_11
; %bb.10:
	ds_load_2addr_b32 v[14:15], v18 offset1:3
	ds_load_2addr_b32 v[23:24], v18 offset0:6 offset1:9
	ds_load_2addr_b32 v[6:7], v18 offset0:12 offset1:15
	;; [unrolled: 1-line block ×7, first 2 shown]
	ds_load_b32 v36, v18 offset:192
	s_wait_dscnt 0x8
	v_lshrrev_b32_e32 v22, 16, v14
	v_lshrrev_b32_e32 v63, 16, v15
	s_wait_dscnt 0x7
	v_lshrrev_b32_e32 v54, 16, v23
	v_lshrrev_b32_e32 v42, 16, v24
	;; [unrolled: 3-line block ×8, first 2 shown]
	s_wait_dscnt 0x0
	v_alignbit_b32 v43, v16, v36, 16
	v_mov_b32_e32 v16, v23
.LBB0_11:
	s_wait_alu 0xfffe
	s_or_b32 exec_lo, exec_lo, s0
	global_wb scope:SCOPE_SE
	s_barrier_signal -1
	s_barrier_wait -1
	global_inv scope:SCOPE_SE
	s_and_saveexec_b32 s0, vcc_lo
	s_cbranch_execz .LBB0_13
; %bb.12:
	v_add_f16_e64 v134, v43, v63
	v_sub_f16_e32 v52, v15, v36
	v_add_f16_e64 v133, v37, v54
	v_sub_f16_e32 v51, v16, v3
	v_add_f16_e64 v131, v38, v42
	v_mul_f16_e64 v77, 0xbbdd, v134
	v_sub_f16_e32 v26, v24, v2
	v_mul_f16_e64 v78, 0x3b76, v133
	v_sub_f16_e32 v125, v6, v9
	v_mul_f16_e64 v79, 0xbacd, v131
	v_fmamk_f16 v27, v52, 0x31e1, v77
	v_add_f16_e32 v23, v41, v39
	v_fmamk_f16 v53, v51, 0xb5c8, v78
	v_sub_f16_e32 v121, v7, v8
	v_mul_f16_e32 v80, 0x3964, v125
	v_add_f16_e32 v55, v22, v27
	v_fmamk_f16 v56, v26, 0x3836, v79
	v_add_f16_e32 v25, v45, v40
	v_sub_f16_e32 v122, v10, v13
	v_sub_f16_e64 v132, v63, v43
	v_add_f16_e32 v53, v53, v55
	v_mul_f16_e32 v84, 0xba62, v121
	v_fma_f16 v57, v23, 0x39e9, -v80
	v_add_f16_e32 v27, v47, v44
	v_sub_f16_e32 v119, v11, v12
	v_add_f16_e32 v53, v56, v53
	v_add_f16_e32 v55, v36, v15
	v_mul_f16_e32 v83, 0x3b29, v122
	v_mul_f16_e64 v82, 0xb1e1, v132
	v_fma_f16 v58, v25, 0xb8d2, -v84
	v_add_f16_e32 v53, v57, v53
	v_sub_f16_e64 v135, v54, v37
	v_add_f16_e32 v56, v3, v16
	v_fma_f16 v57, v27, 0x3722, -v83
	v_fmamk_f16 v59, v55, 0xbbdd, v82
	v_add_f16_e32 v60, v58, v53
	v_mul_f16_e64 v75, 0x35c8, v135
	v_add_f16_e32 v53, v50, v46
	v_sub_f16_e64 v136, v42, v38
	v_mul_f16_e32 v81, 0xbbb2, v119
	v_lshrrev_b32_e32 v143, 16, v43
	v_add_f16_e32 v59, v14, v59
	v_fmamk_f16 v61, v56, 0x3b76, v75
	v_add_f16_e32 v58, v2, v24
	v_mul_f16_e64 v71, 0xb836, v136
	v_add_f16_e32 v57, v57, v60
	v_sub_f16_e64 v137, v41, v39
	v_fma_f16 v60, v53, 0xb461, -v81
	v_sub_f16_e64 v140, v143, v17
	v_mul_f16_e64 v100, 0xbacd, v134
	v_add_f16_e32 v61, v61, v59
	v_fmamk_f16 v62, v58, 0xbacd, v71
	v_add_f16_e32 v59, v6, v9
	v_mul_f16_e64 v72, 0x3964, v137
	v_add_f16_e32 v60, v60, v57
	v_sub_f16_e32 v120, v45, v40
	v_add_f16_e32 v57, v49, v48
	v_mul_f16_e64 v91, 0x3bf7, v140
	v_fmamk_f16 v67, v52, 0x3836, v100
	v_mul_f16_e64 v88, 0x3722, v133
	v_add_f16_e32 v62, v62, v61
	v_fmamk_f16 v64, v59, 0x39e9, v72
	v_add_f16_e32 v61, v7, v8
	v_mul_f16_e32 v73, 0xba62, v120
	v_sub_f16_e32 v123, v47, v44
	v_fma_f16 v68, v57, 0x2de8, -v91
	v_add_f16_e32 v67, v22, v67
	v_fmamk_f16 v69, v51, 0xbb29, v88
	v_mul_f16_e64 v89, 0x2de8, v131
	v_add_f16_e32 v64, v64, v62
	v_fmamk_f16 v65, v61, 0xb8d2, v73
	v_add_f16_e32 v62, v10, v13
	v_mul_f16_e32 v74, 0x3b29, v123
	v_sub_f16_e64 v130, v50, v46
	v_add_f16_e32 v60, v68, v60
	v_add_f16_e32 v67, v69, v67
	v_fmamk_f16 v68, v26, 0x3bf7, v89
	v_mul_f16_e32 v90, 0x3a62, v125
	v_mul_f16_e64 v102, 0xb836, v132
	v_add_f16_e32 v65, v65, v64
	v_fmamk_f16 v66, v62, 0x3722, v74
	v_add_f16_e32 v64, v11, v12
	v_mul_f16_e64 v76, 0xbbb2, v130
	v_add_f16_e32 v67, v68, v67
	v_fma_f16 v68, v23, 0xb8d2, -v90
	v_mul_f16_e32 v97, 0xb5c8, v121
	v_fmamk_f16 v69, v55, 0xbacd, v102
	v_mul_f16_e64 v103, 0x3b29, v135
	v_add_f16_e32 v65, v66, v65
	v_fmamk_f16 v66, v64, 0xb461, v76
	v_sub_f16_e64 v139, v49, v48
	v_add_f16_e32 v67, v68, v67
	v_fma_f16 v68, v25, 0x3b76, -v97
	v_mul_f16_e32 v98, 0xb1e1, v122
	v_add_f16_e32 v69, v14, v69
	v_fmamk_f16 v70, v56, 0x3722, v103
	v_mul_f16_e64 v104, 0xbbf7, v136
	v_add_f16_e32 v66, v66, v65
	v_add_f16_e64 v65, v143, v17
	v_mul_f16_e64 v92, 0x3bf7, v139
	v_add_f16_e32 v67, v68, v67
	v_fma_f16 v68, v27, 0xbbdd, -v98
	v_mul_f16_e32 v99, 0x3964, v119
	v_add_f16_e32 v69, v70, v69
	v_fmamk_f16 v70, v58, 0x2de8, v104
	v_mul_f16_e64 v108, 0x3a62, v137
	v_fmamk_f16 v85, v65, 0x2de8, v92
	v_add_f16_e32 v67, v68, v67
	v_fma_f16 v68, v53, 0x39e9, -v99
	v_add_f16_e32 v69, v70, v69
	v_fmamk_f16 v70, v59, 0xb8d2, v108
	v_mul_f16_e32 v110, 0xb5c8, v120
	v_mul_f16_e64 v93, 0xb8d2, v134
	v_add_f16_e32 v66, v85, v66
	v_add_f16_e32 v67, v68, v67
	;; [unrolled: 1-line block ×3, first 2 shown]
	v_fmamk_f16 v69, v61, 0x3b76, v110
	v_mul_f16_e32 v115, 0xb1e1, v123
	v_fmamk_f16 v70, v52, 0x3a62, v93
	v_mul_f16_e64 v85, 0xb461, v133
	v_mul_f16_e64 v109, 0xbbb2, v140
	v_add_f16_e32 v68, v69, v68
	v_fmamk_f16 v69, v62, 0xbbdd, v115
	v_mul_f16_e64 v117, 0x3964, v130
	v_add_f16_e32 v70, v22, v70
	v_fmamk_f16 v87, v51, 0xbbb2, v85
	v_mul_f16_e64 v86, 0x3b76, v131
	v_fma_f16 v94, v57, 0xb461, -v109
	v_add_f16_e32 v68, v69, v68
	v_fmamk_f16 v69, v64, 0x39e9, v117
	v_add_f16_e32 v70, v87, v70
	v_fmamk_f16 v95, v26, 0x35c8, v86
	v_mul_f16_e32 v87, 0xb836, v125
	v_mul_f16_e64 v114, 0xba62, v132
	v_add_f16_e32 v67, v94, v67
	v_add_f16_e32 v68, v69, v68
	;; [unrolled: 1-line block ×3, first 2 shown]
	v_fma_f16 v70, v23, 0xbacd, -v87
	v_mul_f16_e32 v94, 0x3bf7, v121
	v_fmamk_f16 v96, v55, 0xb8d2, v114
	v_mul_f16_e64 v116, 0x3bb2, v135
	v_mul_f16_e32 v95, 0xb964, v122
	v_add_f16_e32 v69, v70, v69
	v_fma_f16 v70, v25, 0x2de8, -v94
	v_add_f16_e32 v101, v14, v96
	v_fmamk_f16 v106, v56, 0xb461, v116
	v_mul_f16_e64 v105, 0xb5c8, v136
	v_mul_f16_e64 v118, 0xbbb2, v139
	v_add_f16_e32 v69, v70, v69
	v_fma_f16 v70, v27, 0x39e9, -v95
	v_mul_f16_e32 v96, 0xb1e1, v119
	v_add_f16_e32 v101, v106, v101
	v_fmamk_f16 v107, v58, 0x3b76, v105
	v_mul_f16_e64 v106, 0xb836, v137
	v_fmamk_f16 v111, v65, 0xb461, v118
	v_add_f16_e32 v69, v70, v69
	v_fma_f16 v70, v53, 0xbbdd, -v96
	v_add_f16_e32 v101, v107, v101
	v_fmamk_f16 v112, v59, 0xbacd, v106
	v_mul_f16_e32 v107, 0x3bf7, v120
	v_mul_f16_e64 v126, 0xb461, v134
	v_add_f16_e32 v68, v111, v68
	v_add_f16_e32 v69, v70, v69
	v_add_f16_e32 v70, v112, v101
	v_fmamk_f16 v112, v61, 0x2de8, v107
	v_mul_f16_e32 v111, 0xb964, v123
	v_fmamk_f16 v113, v52, 0x3bb2, v126
	v_mul_f16_e64 v127, 0xbacd, v133
	v_mul_f16_e64 v128, 0x39e9, v131
	v_add_f16_e32 v70, v112, v70
	v_fmamk_f16 v124, v62, 0x39e9, v111
	v_mul_f16_e64 v112, 0xb1e1, v130
	v_add_f16_e64 v129, v22, v113
	v_fma_f16 v138, 0xb836, v51, v127
	v_add_f16_e32 v15, v15, v14
	v_mul_f16_e64 v101, 0x3b29, v140
	v_add_f16_e32 v70, v124, v70
	v_fmamk_f16 v124, v64, 0xbbdd, v112
	v_mul_f16_e64 v113, 0x3b29, v139
	v_add_f16_e64 v138, v138, v129
	v_fma_f16 v141, 0xb964, v26, v128
	v_mul_f16_e64 v129, 0xbb29, v125
	v_add_f16_e32 v16, v16, v15
	v_fma_f16 v142, v57, 0x3722, -v101
	v_add_f16_e32 v70, v124, v70
	v_fma_f16 v144, 0x3722, v65, v113
	v_add_f16_e64 v141, v141, v138
	v_fma_f16 v145, v23, 0x3722, -v129
	v_mul_f16_e64 v124, 0xbbb2, v132
	v_add_f16_e32 v24, v24, v16
	v_add_f16_e64 v69, v142, v69
	v_add_f16_e64 v70, v144, v70
	v_mul_f16_e64 v138, 0xb1e1, v121
	v_add_f16_e64 v142, v145, v141
	v_fma_f16 v144, 0xb461, v55, v124
	v_mul_f16_e64 v141, 0x3836, v135
	v_add_f16_e32 v6, v6, v24
	v_fma_f16 v145, v25, 0xbbdd, -v138
	v_mul_f16_e64 v157, 0x3bf7, v122
	v_add_f16_e64 v144, v14, v144
	v_fma_f16 v146, 0xbacd, v56, v141
	v_mul_f16_e64 v15, 0x3964, v136
	v_add_f16_e32 v6, v7, v6
	v_add_f16_e64 v142, v145, v142
	v_fma_f16 v145, v27, 0x2de8, -v157
	v_add_f16_e64 v144, v146, v144
	v_fma_f16 v146, 0x39e9, v58, v15
	v_mul_f16_e64 v16, 0xbb29, v137
	v_mul_f16_e64 v154, 0xb5c8, v119
	v_add_f16_e32 v6, v10, v6
	v_add_f16_e64 v142, v145, v142
	v_add_f16_e64 v144, v146, v144
	v_fma_f16 v145, 0x3722, v59, v16
	v_mul_f16_e32 v24, 0xb1e1, v120
	v_fma_f16 v7, v53, 0x3b76, -v154
	v_mul_f16_e64 v156, 0x2de8, v134
	v_add_f16_e32 v6, v11, v6
	v_add_f16_e64 v144, v145, v144
	v_fmamk_f16 v10, v61, 0xbbdd, v24
	v_add_f16_e64 v7, v7, v142
	v_fma_f16 v145, 0x3bf7, v52, v156
	v_mul_f16_e64 v142, 0xbbdd, v133
	v_add_f16_e64 v6, v143, v6
	v_add_f16_e64 v144, v10, v144
	v_mul_f16_e32 v10, 0x3bf7, v123
	v_add_f16_e64 v145, v22, v145
	v_fma_f16 v146, 0x31e1, v51, v142
	v_mul_f16_e64 v143, 0xb461, v131
	v_add_f16_e32 v6, v17, v6
	v_fma_f16 v147, 0x2de8, v62, v10
	v_mul_f16_e64 v11, 0xb5c8, v130
	v_add_f16_e64 v145, v146, v145
	v_fma_f16 v146, 0xbbb2, v26, v143
	v_mul_f16_e32 v17, 0x35c8, v125
	v_add_f16_e32 v6, v12, v6
	v_add_f16_e64 v147, v147, v144
	v_fma_f16 v148, 0x3b76, v64, v11
	v_add_f16_e64 v12, v146, v145
	v_fma_f16 v145, v23, 0x3b76, -v17
	v_mul_f16_e64 v144, 0xbb29, v121
	v_mul_f16_e64 v163, 0xba62, v140
	v_add_f16_e32 v6, v13, v6
	v_add_f16_e64 v13, v148, v147
	v_add_f16_e64 v145, v145, v12
	v_fma_f16 v146, v25, 0x3722, -v144
	v_mul_f16_e64 v12, 0xba62, v139
	v_add_f16_e32 v6, v8, v6
	v_mul_f16_e64 v148, 0xb836, v122
	v_fma_f16 v8, v57, 0xb8d2, -v163
	v_mul_f16_e64 v162, 0xbbf7, v132
	v_add_f16_e64 v145, v146, v145
	v_fma_f16 v146, 0xb8d2, v65, v12
	v_add_f16_e32 v9, v9, v6
	v_fma_f16 v147, v27, 0xbacd, -v148
	v_mul_f16_e64 v152, 0x3a62, v119
	v_add_f16_e32 v6, v8, v7
	v_fma_f16 v8, 0x2de8, v55, v162
	v_mul_f16_e64 v164, 0xb1e1, v135
	v_add_f16_e64 v7, v146, v13
	v_add_f16_e64 v13, v147, v145
	v_fma_f16 v145, v53, 0xb8d2, -v152
	v_add_f16_e32 v8, v14, v8
	v_fma_f16 v146, 0xbbdd, v56, v164
	v_mul_f16_e64 v165, 0x3bb2, v136
	v_mul_f16_e64 v155, 0x3964, v140
	v_add_f16_e32 v2, v2, v9
	v_add_f16_e64 v9, v145, v13
	v_add_f16_e64 v8, v146, v8
	v_fma_f16 v13, 0xb461, v58, v165
	v_mul_f16_e64 v168, 0x35c8, v137
	v_fma_f16 v145, v57, 0x39e9, -v155
	v_add_f16_e64 v188, v3, v2
	v_mul_f16_e64 v153, 0x3722, v134
	v_add_f16_e32 v3, v13, v8
	v_fma_f16 v8, 0x3b76, v59, v168
	v_mul_f16_e64 v175, 0xbb29, v120
	v_add_f16_e64 v2, v145, v9
	v_fma_f16 v9, 0x3b29, v52, v153
	v_mul_f16_e64 v13, 0xb8d2, v133
	v_add_f16_e32 v3, v8, v3
	v_fma_f16 v8, 0x3722, v61, v175
	v_mul_f16_e64 v176, 0xb836, v123
	v_add_f16_e32 v9, v22, v9
	;; [unrolled: 3-line block ×3, first 2 shown]
	v_fma_f16 v8, 0xbacd, v62, v176
	v_mul_f16_e64 v177, 0x3a62, v130
	v_add_f16_e64 v9, v146, v9
	v_fma_f16 v147, 0xb1e1, v26, v145
	v_mul_f16_e64 v146, 0x3bb2, v125
	v_add_f16_e32 v3, v8, v3
	v_fma_f16 v8, 0xb8d2, v64, v177
	v_mul_f16_e64 v161, 0x3964, v139
	v_add_f16_e64 v9, v147, v9
	v_fma_f16 v149, v23, 0xb461, -v146
	v_mul_f16_e64 v147, 0x3964, v121
	v_add_f16_e32 v3, v8, v3
	v_fma_f16 v8, 0x39e9, v65, v161
	v_mul_f16_e64 v170, 0xbb29, v132
	v_add_f16_e64 v9, v149, v9
	v_fma_f16 v149, v25, 0x39e9, -v147
	;; [unrolled: 6-line block ×4, first 2 shown]
	v_mul_f16_e64 v149, 0xb836, v140
	v_add_f16_e64 v8, v158, v8
	v_fma_f16 v158, 0xbbdd, v58, v166
	v_mul_f16_e64 v167, 0x3bb2, v137
	v_add_f16_e64 v9, v159, v9
	v_fma_f16 v159, v57, 0xbacd, -v149
	v_mul_f16_e64 v180, 0x39e9, v134
	v_add_f16_e64 v158, v158, v8
	v_fma_f16 v160, 0xb461, v59, v167
	v_mul_f16_e64 v172, 0x3964, v120
	v_add_f16_e64 v8, v159, v9
	v_fma_f16 v9, 0x3964, v52, v180
	;; [unrolled: 3-line block ×3, first 2 shown]
	v_mul_f16_e64 v173, 0xb5c8, v123
	v_add_f16_e32 v9, v22, v9
	v_fma_f16 v160, 0x3bf7, v51, v181
	v_mul_f16_e64 v182, 0xb8d2, v131
	v_add_f16_e64 v158, v159, v158
	v_fma_f16 v159, 0x3b76, v62, v173
	v_mul_f16_e64 v174, 0xbbf7, v130
	v_add_f16_e64 v9, v160, v9
	;; [unrolled: 3-line block ×4, first 2 shown]
	v_fma_f16 v160, v23, 0xbbdd, -v183
	v_mul_f16_e64 v184, 0x3836, v121
	v_add_f16_e64 v186, v159, v158
	v_fma_f16 v158, 0x39e9, v55, v178
	v_mul_f16_e64 v169, 0xbbf7, v135
	v_add_f16_e64 v9, v160, v9
	v_fma_f16 v159, v25, 0xbacd, -v184
	v_mul_f16_e64 v185, 0x3bb2, v122
	v_add_f16_e64 v160, v14, v158
	v_fma_f16 v179, 0x2de8, v56, v169
	v_mul_f16_e64 v158, 0xba62, v136
	v_mul_f16_e64 v187, 0xb836, v139
	v_add_f16_e64 v9, v159, v9
	v_fma_f16 v189, v27, 0xb461, -v185
	v_add_f16_e64 v160, v179, v160
	v_fma_f16 v190, 0xb8d2, v58, v158
	v_mul_f16_e64 v159, 0xb1e1, v137
	v_fma_f16 v191, 0xbacd, v65, v187
	v_mul_f16_e64 v179, 0x3b29, v119
	v_add_f16_e64 v189, v189, v9
	v_add_f16_e64 v190, v190, v160
	v_fma_f16 v192, 0xbbdd, v59, v159
	v_mul_f16_e64 v160, 0x3836, v120
	v_add_f16_e64 v9, v191, v186
	v_mul_f16_e64 v186, 0x3b76, v134
	v_fma_f16 v193, v53, 0x3722, -v179
	v_add_f16_e64 v190, v192, v190
	v_fma_f16 v191, 0xbacd, v61, v160
	v_mul_f16_e64 v134, 0x3bb2, v123
	v_fma_f16 v192, 0x35c8, v52, v186
	v_mul_f16_e64 v133, 0x39e9, v133
	v_add_f16_e32 v63, v63, v22
	v_add_f16_e64 v189, v193, v189
	v_add_f16_e64 v190, v191, v190
	v_fma_f16 v191, 0xb461, v62, v134
	v_add_f16_e64 v192, v22, v192
	v_fma_f16 v193, 0x3964, v51, v133
	v_mul_f16_e64 v131, 0x3722, v131
	v_add_f16_e64 v194, v54, v63
	v_mul_f16_e64 v54, 0x35c8, v140
	v_add_f16_e64 v190, v191, v190
	v_add_f16_e64 v191, v193, v192
	v_fma_f16 v192, 0x3b29, v26, v131
	v_mul_f16_e64 v63, 0x3b29, v130
	v_add_f16_e64 v42, v42, v194
	v_fma_f16 v193, v57, 0x3b76, -v54
	v_mul_f16_e64 v132, 0xb5c8, v132
	v_add_f16_e64 v191, v192, v191
	v_fma_f16 v192, 0x3722, v64, v63
	v_add_f16_e32 v42, v41, v42
	v_add_f16_e64 v41, v193, v189
	v_mul_f16_e64 v136, 0xbb29, v136
	v_mul_f16_e64 v137, 0xbbf7, v137
	v_add_f16_e64 v189, v192, v190
	v_add_f16_e64 v190, v45, v42
	v_mul_f16_e32 v45, 0xba62, v122
	v_fmac_f16_e32 v77, 0xb1e1, v52
	v_fmac_f16_e32 v78, 0x35c8, v51
	;; [unrolled: 1-line block ×3, first 2 shown]
	v_add_f16_e64 v122, v47, v190
	v_mul_f16_e32 v47, 0xb836, v119
	v_fma_f16 v119, 0x3b76, v55, v132
	v_add_f16_e32 v77, v22, v77
	v_fmac_f16_e32 v80, 0x39e9, v23
	v_add_f16_e32 v50, v50, v122
	v_mul_f16_e64 v122, 0xb964, v135
	v_fmac_f16_e32 v84, 0xb8d2, v25
	v_add_f16_e32 v77, v78, v77
	v_fmac_f16_e32 v83, 0x3722, v27
	v_add_f16_e32 v49, v49, v50
	v_add_f16_e32 v50, v14, v119
	v_fmamk_f16 v119, v56, 0x39e9, v122
	v_add_f16_e32 v77, v79, v77
	v_fmac_f16_e32 v100, 0xb836, v52
	v_add_f16_e32 v49, v48, v49
	v_fmac_f16_e32 v88, 0x3b29, v51
	v_add_f16_e32 v50, v119, v50
	v_fma_f16 v119, 0x3722, v58, v136
	v_add_f16_e32 v77, v80, v77
	v_add_f16_e32 v46, v46, v49
	v_fmac_f16_e32 v89, 0xbbf7, v26
	v_fmac_f16_e32 v90, 0xb8d2, v23
	v_add_f16_e32 v49, v119, v50
	v_fma_f16 v50, 0x2de8, v59, v137
	v_mul_f16_e32 v119, 0xbbb2, v120
	v_add_f16_e32 v44, v44, v46
	v_fmac_f16_e32 v97, 0x3b76, v25
	v_fmac_f16_e32 v98, 0xbbdd, v27
	v_add_f16_e32 v46, v50, v49
	v_fmamk_f16 v49, v61, 0xb461, v119
	v_mul_f16_e32 v50, 0xba62, v123
	v_add_f16_e32 v40, v40, v44
	v_fmac_f16_e32 v99, 0x39e9, v53
	v_fmac_f16_e32 v109, 0xb461, v57
	v_add_f16_e32 v44, v49, v46
	v_fmamk_f16 v46, v62, 0xb8d2, v50
	v_mul_f16_e64 v49, 0xb836, v130
	v_add_f16_e32 v39, v39, v40
	v_fmac_f16_e32 v93, 0xba62, v52
	v_fmac_f16_e32 v85, 0x3bb2, v51
	v_add_f16_e32 v40, v46, v44
	v_fmamk_f16 v44, v64, 0xbacd, v49
	v_mul_f16_e64 v46, 0xb1e1, v139
	v_add_f16_e32 v38, v38, v39
	v_fmac_f16_e32 v126, 0xbbb2, v52
	v_fmac_f16_e32 v127, 0x3836, v51
	v_add_f16_e32 v39, v44, v40
	v_fmamk_f16 v40, v65, 0xbbdd, v46
	v_add_f16_e32 v44, v84, v77
	v_add_f16_e32 v37, v37, v38
	v_fmac_f16_e64 v128, 0x3964, v26
	v_fmac_f16_e64 v129, 0x3722, v23
	v_add_f16_e32 v38, v40, v39
	v_fma_f16 v40, v55, 0xbbdd, -v82
	v_add_f16_e32 v39, v83, v44
	v_add_f16_e32 v37, v43, v37
	v_fma_f16 v43, v56, 0x3b76, -v75
	v_add_f16_e32 v44, v22, v100
	v_add_f16_e32 v40, v14, v40
	v_fma_f16 v75, v55, 0xbacd, -v102
	v_fmac_f16_e64 v138, 0xbbdd, v25
	v_fmac_f16_e64 v157, 0x2de8, v27
	v_add_f16_e32 v44, v88, v44
	v_add_f16_e32 v40, v43, v40
	v_fma_f16 v43, v58, 0xbacd, -v71
	v_add_f16_e32 v71, v14, v75
	v_fma_f16 v75, v56, 0x3722, -v103
	v_add_f16_e32 v44, v89, v44
	v_fmac_f16_e64 v154, 0x3b76, v53
	v_add_f16_e32 v40, v43, v40
	v_fma_f16 v43, v59, 0x39e9, -v72
	v_add_f16_e32 v71, v75, v71
	v_fma_f16 v72, v58, 0x2de8, -v104
	;; [unrolled: 2-line block ×5, first 2 shown]
	v_add_f16_e32 v44, v97, v44
	v_add_f16_e32 v73, v22, v93
	;; [unrolled: 1-line block ×3, first 2 shown]
	v_fma_f16 v43, v62, 0x3722, -v74
	v_add_f16_e32 v71, v72, v71
	v_fma_f16 v72, v61, 0x3b76, -v110
	v_add_f16_e32 v44, v98, v44
	;; [unrolled: 2-line block ×5, first 2 shown]
	v_fmac_f16_e64 v156, 0xbbf7, v52
	v_add_f16_e32 v40, v43, v40
	v_fma_f16 v43, v65, 0x2de8, -v92
	v_add_f16_e32 v71, v72, v71
	v_fma_f16 v72, v64, 0x39e9, -v117
	v_add_f16_e64 v76, v22, v156
	v_fmac_f16_e64 v142, 0xb1e1, v51
	v_add_f16_e32 v40, v43, v40
	v_add_f16_e32 v43, v109, v44
	v_fma_f16 v44, v55, 0xb8d2, -v114
	v_add_f16_e32 v71, v72, v71
	v_fma_f16 v72, v65, 0xb461, -v118
	v_fma_f16 v79, v55, 0x2de8, -v162
	;; [unrolled: 1-line block ×3, first 2 shown]
	v_add_f16_e32 v44, v14, v44
	v_fmac_f16_e64 v143, 0x3bb2, v26
	v_add_f16_e32 v71, v72, v71
	v_add_f16_e32 v72, v85, v73
	v_fma_f16 v73, v58, 0x3b76, -v105
	v_add_f16_e32 v44, v74, v44
	v_add_f16_e32 v74, v22, v126
	v_fma_f16 v16, v59, 0x3722, -v16
	v_fmac_f16_e32 v17, 0x3b76, v23
	v_fmac_f16_e64 v144, 0x3722, v25
	v_add_f16_e32 v44, v73, v44
	v_fma_f16 v73, v59, 0xbacd, -v106
	v_add_f16_e32 v74, v127, v74
	v_fma_f16 v10, v62, 0x2de8, -v10
	v_fmac_f16_e64 v148, 0xbacd, v27
	v_fma_f16 v11, v64, 0x3b76, -v11
	v_add_f16_e32 v44, v73, v44
	v_fma_f16 v73, v61, 0x2de8, -v107
	v_add_f16_e64 v74, v128, v74
	v_fmac_f16_e64 v152, 0xb8d2, v53
	v_fmac_f16_e64 v155, 0x39e9, v57
	;; [unrolled: 1-line block ×3, first 2 shown]
	v_add_f16_e32 v44, v73, v44
	v_fma_f16 v73, v62, 0x39e9, -v111
	v_add_f16_e64 v74, v129, v74
	v_fmac_f16_e32 v13, 0xba62, v51
	v_fmac_f16_e64 v180, 0xb964, v52
	v_fmac_f16_e64 v181, 0xbbf7, v51
	v_add_f16_e32 v44, v73, v44
	v_fma_f16 v73, v64, 0xbbdd, -v112
	v_add_f16_e64 v74, v138, v74
	v_fmac_f16_e64 v182, 0xba62, v26
	v_fmac_f16_e64 v183, 0xbbdd, v23
	;; [unrolled: 1-line block ×3, first 2 shown]
	v_add_f16_e32 v44, v73, v44
	v_fma_f16 v73, v65, 0x3722, -v113
	v_add_f16_e64 v74, v157, v74
	v_fmac_f16_e64 v185, 0xb461, v27
	v_fmac_f16_e64 v179, 0x3722, v53
	;; [unrolled: 1-line block ×3, first 2 shown]
	v_add_f16_e32 v44, v73, v44
	v_add_f16_e64 v73, v154, v74
	v_add_f16_e32 v74, v14, v75
	v_fma_f16 v75, v56, 0xbacd, -v141
	v_fmac_f16_e64 v133, 0xb964, v51
	v_fma_f16 v51, v55, 0x3b76, -v132
	v_mul_f16_e32 v125, 0xbbf7, v125
	v_fmac_f16_e32 v86, 0xb5c8, v26
	v_add_f16_e32 v74, v75, v74
	v_add_f16_e64 v75, v142, v76
	v_add_f16_e32 v76, v14, v79
	v_fma_f16 v79, v56, 0xbbdd, -v164
	v_fmac_f16_e64 v145, 0x31e1, v26
	v_add_f16_e32 v15, v15, v74
	v_add_f16_e64 v74, v143, v75
	v_fmac_f16_e64 v131, 0xbb29, v26
	v_add_f16_e32 v75, v79, v76
	v_fma_f16 v76, v58, 0xb461, -v165
	v_add_f16_e32 v15, v16, v15
	v_fma_f16 v16, v61, 0xbbdd, -v24
	;; [unrolled: 2-line block ×4, first 2 shown]
	v_add_f16_e32 v15, v16, v15
	v_add_f16_e64 v16, v144, v17
	v_fma_f16 v194, v23, 0x2de8, -v125
	v_add_f16_e32 v17, v74, v24
	v_fma_f16 v24, v61, 0x3722, -v175
	v_add_f16_e32 v10, v10, v15
	v_add_f16_e64 v15, v148, v16
	v_mul_f16_e32 v121, 0xbbb2, v121
	v_fmac_f16_e32 v87, 0xbacd, v23
	v_add_f16_e32 v16, v24, v17
	v_fma_f16 v17, v62, 0xbacd, -v176
	v_add_f16_e32 v10, v11, v10
	v_fma_f16 v11, v65, 0xb8d2, -v12
	v_add_f16_e64 v12, v152, v15
	v_fma_f16 v24, v56, 0xb8d2, -v171
	v_add_f16_e32 v15, v17, v16
	v_fma_f16 v16, v64, 0xb8d2, -v177
	v_add_f16_e32 v10, v11, v10
	v_add_f16_e64 v11, v155, v12
	v_fma_f16 v12, v55, 0x3722, -v170
	v_add_f16_e64 v17, v22, v153
	v_add_f16_e32 v15, v16, v15
	v_fma_f16 v16, v65, 0x39e9, -v161
	v_fmac_f16_e64 v146, 0xb461, v23
	v_add_f16_e32 v12, v14, v12
	v_add_f16_e32 v13, v13, v17
	v_add_f16_e64 v17, v22, v180
	v_add_f16_e32 v15, v16, v15
	v_fma_f16 v16, v58, 0xbbdd, -v166
	v_add_f16_e32 v12, v24, v12
	v_fma_f16 v24, v55, 0x39e9, -v178
	v_add_f16_e64 v17, v181, v17
	v_add_f16_e64 v22, v22, v186
	v_fmac_f16_e32 v125, 0x2de8, v23
	v_add_f16_e32 v12, v16, v12
	v_fma_f16 v16, v59, 0xb461, -v167
	v_add_f16_e64 v17, v182, v17
	v_add_f16_e64 v22, v133, v22
	v_fma_f16 v23, v58, 0x3722, -v136
	v_add_f16_e64 v191, v194, v191
	v_add_f16_e32 v12, v16, v12
	v_fma_f16 v16, v61, 0x39e9, -v172
	v_add_f16_e64 v17, v183, v17
	v_fma_f16 v192, v25, 0xb461, -v121
	v_add_f16_e32 v72, v86, v72
	v_add_f16_e64 v13, v145, v13
	v_add_f16_e32 v12, v16, v12
	v_fma_f16 v16, v62, 0x3b76, -v173
	v_add_f16_e64 v17, v184, v17
	v_add_f16_e64 v22, v131, v22
	;; [unrolled: 1-line block ×3, first 2 shown]
	v_fma_f16 v191, v27, 0xb8d2, -v45
	v_add_f16_e32 v12, v16, v12
	v_fma_f16 v16, v64, 0x2de8, -v174
	v_add_f16_e64 v17, v185, v17
	v_add_f16_e32 v72, v87, v72
	v_fmac_f16_e32 v94, 0x2de8, v25
	v_add_f16_e64 v13, v146, v13
	v_add_f16_e32 v12, v16, v12
	v_fma_f16 v16, v65, 0xbacd, -v187
	v_fmac_f16_e64 v147, 0x39e9, v25
	v_add_f16_e32 v22, v125, v22
	v_fmac_f16_e32 v121, 0xb461, v25
	v_add_f16_e64 v135, v191, v190
	v_add_f16_e32 v12, v16, v12
	v_add_f16_e64 v16, v179, v17
	v_add_f16_e32 v17, v14, v24
	v_fma_f16 v24, v56, 0x2de8, -v169
	v_add_f16_e32 v14, v14, v51
	v_fma_f16 v190, v53, 0xbacd, -v47
	v_mul_f16_e64 v48, 0xb1e1, v140
	v_mul_f16_e64 v42, 0x35c8, v139
	v_add_f16_e32 v17, v24, v17
	v_fma_f16 v24, v58, 0xb8d2, -v158
	v_add_f16_e32 v14, v26, v14
	v_add_f16_e32 v72, v94, v72
	v_fmac_f16_e32 v95, 0x39e9, v27
	v_add_f16_e64 v13, v147, v13
	v_add_f16_e32 v17, v24, v17
	v_fma_f16 v24, v59, 0xbbdd, -v159
	v_add_f16_e32 v14, v23, v14
	v_fma_f16 v23, v59, 0x2de8, -v137
	v_fmac_f16_e64 v150, 0x3b76, v27
	v_add_f16_e32 v22, v121, v22
	v_add_f16_e32 v17, v24, v17
	v_fma_f16 v24, v61, 0xbacd, -v160
	v_add_f16_e32 v14, v23, v14
	v_fma_f16 v23, v61, 0xb461, -v119
	v_fmac_f16_e32 v45, 0xb8d2, v27
	v_add_f16_e64 v135, v190, v135
	v_add_f16_e32 v17, v24, v17
	v_fma_f16 v24, v62, 0xb461, -v134
	v_add_f16_e32 v14, v23, v14
	v_fma_f16 v23, v62, 0xb8d2, -v50
	v_fma_f16 v78, v57, 0xbbdd, -v48
	v_fmac_f16_e32 v81, 0xb461, v53
	v_add_f16_e32 v17, v24, v17
	v_fma_f16 v24, v64, 0x3722, -v63
	v_fma_f16 v191, 0x3b76, v65, v42
	v_add_f16_e32 v72, v95, v72
	v_fmac_f16_e32 v96, 0xbbdd, v53
	v_add_f16_e64 v13, v150, v13
	v_fmac_f16_e64 v151, 0x2de8, v53
	v_add_f16_e32 v22, v45, v22
	v_fmac_f16_e32 v47, 0xbacd, v53
	v_add_f16_e32 v14, v23, v14
	v_fma_f16 v23, v64, 0xbacd, -v49
	v_add_f16_e64 v78, v78, v135
	v_add_f16_e64 v36, v36, v188
	v_add_f16_e32 v39, v81, v39
	v_fmac_f16_e32 v91, 0x2de8, v57
	v_add_f16_e32 v17, v24, v17
	v_fma_f16 v24, v65, 0x3b76, -v42
	v_and_b32_e32 v25, 0xffff, v35
	v_add_f16_e64 v77, v191, v189
	v_add_f16_e32 v72, v96, v72
	v_fmac_f16_e32 v101, 0x3722, v57
	v_fmac_f16_e64 v163, 0xb8d2, v57
	v_add_f16_e64 v13, v151, v13
	v_fmac_f16_e64 v149, 0xbacd, v57
	v_fmac_f16_e32 v54, 0x3b76, v57
	v_add_f16_e32 v22, v47, v22
	v_fmac_f16_e32 v48, 0xbbdd, v57
	v_add_f16_e32 v14, v23, v14
	v_fma_f16 v23, v65, 0xbbdd, -v46
	v_add_f16_e32 v39, v91, v39
	v_add_f16_e32 v17, v24, v17
	v_lshl_add_u32 v24, v25, 2, v34
	v_pack_b32_f16 v25, v38, v78
	v_pack_b32_f16 v26, v36, v37
	v_add_f16_e32 v72, v101, v72
	v_pack_b32_f16 v8, v9, v8
	v_pack_b32_f16 v9, v77, v41
	v_add_f16_e64 v73, v163, v73
	v_pack_b32_f16 v6, v7, v6
	v_pack_b32_f16 v2, v3, v2
	v_add_f16_e64 v13, v149, v13
	v_add_f16_e32 v16, v54, v16
	v_pack_b32_f16 v3, v68, v67
	v_pack_b32_f16 v7, v70, v69
	v_add_f16_e32 v22, v48, v22
	v_add_f16_e32 v14, v23, v14
	ds_store_2addr_b32 v24, v26, v25 offset1:1
	ds_store_2addr_b32 v24, v9, v8 offset0:2 offset1:3
	ds_store_2addr_b32 v24, v2, v6 offset0:4 offset1:5
	;; [unrolled: 1-line block ×3, first 2 shown]
	v_pack_b32_f16 v2, v40, v39
	v_pack_b32_f16 v3, v66, v60
	;; [unrolled: 1-line block ×9, first 2 shown]
	ds_store_2addr_b32 v24, v3, v2 offset0:8 offset1:9
	ds_store_2addr_b32 v24, v7, v6 offset0:10 offset1:11
	;; [unrolled: 1-line block ×4, first 2 shown]
	ds_store_b32 v24, v12 offset:64
.LBB0_13:
	s_wait_alu 0xfffe
	s_or_b32 exec_lo, exec_lo, s0
	global_wb scope:SCOPE_SE
	s_wait_dscnt 0x0
	s_barrier_signal -1
	s_barrier_wait -1
	global_inv scope:SCOPE_SE
	ds_load_2addr_b32 v[2:3], v21 offset1:17
	ds_load_b32 v6, v21 offset:136
	s_wait_dscnt 0x1
	v_lshrrev_b32_e32 v7, 16, v3
	s_wait_dscnt 0x0
	v_lshrrev_b32_e32 v8, 16, v6
	v_mul_f16_e32 v9, v19, v3
	v_mul_f16_e32 v10, v20, v6
	;; [unrolled: 1-line block ×3, first 2 shown]
	s_delay_alu instid0(VALU_DEP_4) | instskip(NEXT) | instid1(VALU_DEP_4)
	v_mul_f16_e32 v12, v20, v8
	v_fma_f16 v7, v4, v7, -v9
	s_delay_alu instid0(VALU_DEP_4) | instskip(SKIP_3) | instid1(VALU_DEP_4)
	v_fma_f16 v8, v5, v8, -v10
	v_lshrrev_b32_e32 v9, 16, v2
	v_fmac_f16_e32 v11, v4, v3
	v_fmac_f16_e32 v12, v5, v6
	v_add_f16_e32 v3, v7, v8
	s_delay_alu instid0(VALU_DEP_4) | instskip(NEXT) | instid1(VALU_DEP_4)
	v_add_f16_e32 v4, v9, v7
	v_add_f16_e32 v6, v2, v11
	s_delay_alu instid0(VALU_DEP_4)
	v_add_f16_e32 v5, v11, v12
	v_sub_f16_e32 v7, v7, v8
	v_fmac_f16_e32 v9, -0.5, v3
	v_sub_f16_e32 v3, v11, v12
	v_add_f16_e32 v4, v4, v8
	v_fmac_f16_e32 v2, -0.5, v5
	v_add_f16_e32 v5, v6, v12
	s_delay_alu instid0(VALU_DEP_4) | instskip(SKIP_1) | instid1(VALU_DEP_4)
	v_fmamk_f16 v6, v3, 0x3aee, v9
	v_fmac_f16_e32 v9, 0xbaee, v3
	v_fmamk_f16 v3, v7, 0xbaee, v2
	v_fmac_f16_e32 v2, 0x3aee, v7
	v_pack_b32_f16 v4, v5, v4
	s_delay_alu instid0(VALU_DEP_3) | instskip(NEXT) | instid1(VALU_DEP_3)
	v_pack_b32_f16 v3, v3, v6
	v_pack_b32_f16 v2, v2, v9
	ds_store_2addr_b32 v18, v4, v3 offset1:17
	ds_store_b32 v18, v2 offset:136
	global_wb scope:SCOPE_SE
	s_wait_dscnt 0x0
	s_barrier_signal -1
	s_barrier_wait -1
	global_inv scope:SCOPE_SE
	s_and_b32 exec_lo, exec_lo, vcc_lo
	s_cbranch_execz .LBB0_15
; %bb.14:
	global_load_b32 v2, v28, s[12:13]
	ds_load_b32 v3, v18
	s_mov_b32 s8, 0x14141414
	s_mov_b32 s9, 0x3f941414
	v_mad_co_u64_u32 v[8:9], null, s4, v33, 0
	s_mul_u64 s[10:11], s[4:5], 24
	s_wait_dscnt 0x0
	v_lshrrev_b32_e32 v4, 16, v3
	s_wait_loadcnt 0x0
	v_lshrrev_b32_e32 v5, 16, v2
	s_delay_alu instid0(VALU_DEP_1) | instskip(SKIP_1) | instid1(VALU_DEP_2)
	v_mul_f16_e32 v6, v4, v5
	v_mul_f16_e32 v5, v3, v5
	v_fmac_f16_e32 v6, v3, v2
	s_delay_alu instid0(VALU_DEP_2) | instskip(NEXT) | instid1(VALU_DEP_2)
	v_fma_f16 v2, v2, v4, -v5
	v_cvt_f32_f16_e32 v3, v6
	s_delay_alu instid0(VALU_DEP_2) | instskip(SKIP_1) | instid1(VALU_DEP_3)
	v_cvt_f32_f16_e32 v4, v2
	v_mad_co_u64_u32 v[6:7], null, s6, v1, 0
	v_cvt_f64_f32_e32 v[2:3], v3
	s_delay_alu instid0(VALU_DEP_3) | instskip(SKIP_1) | instid1(VALU_DEP_2)
	v_cvt_f64_f32_e32 v[4:5], v4
	s_wait_alu 0xfffe
	v_mul_f64_e32 v[2:3], s[8:9], v[2:3]
	s_delay_alu instid0(VALU_DEP_2) | instskip(NEXT) | instid1(VALU_DEP_2)
	v_mul_f64_e32 v[4:5], s[8:9], v[4:5]
	v_and_or_b32 v2, 0x1ff, v3, v2
	s_delay_alu instid0(VALU_DEP_2)
	v_and_or_b32 v4, 0x1ff, v5, v4
	v_lshrrev_b32_e32 v10, 8, v3
	v_bfe_u32 v11, v3, 20, 11
	v_lshrrev_b32_e32 v12, 8, v5
	v_cmp_ne_u32_e32 vcc_lo, 0, v2
	v_bfe_u32 v13, v5, 20, 11
	v_mov_b32_e32 v2, v9
	v_sub_nc_u32_e32 v15, 0x3f1, v11
	v_lshrrev_b32_e32 v5, 16, v5
	v_cndmask_b32_e64 v14, 0, 1, vcc_lo
	v_cmp_ne_u32_e32 vcc_lo, 0, v4
	v_sub_nc_u32_e32 v16, 0x3f1, v13
	s_delay_alu instid0(VALU_DEP_3)
	v_and_or_b32 v14, 0xffe, v10, v14
	s_wait_alu 0xfffd
	v_cndmask_b32_e64 v4, 0, 1, vcc_lo
	v_mad_co_u64_u32 v[9:10], null, s7, v1, v[7:8]
	v_med3_i32 v10, v15, 0, 13
	v_or_b32_e32 v15, 0x1000, v14
	s_delay_alu instid0(VALU_DEP_4) | instskip(SKIP_3) | instid1(VALU_DEP_3)
	v_and_or_b32 v4, 0xffe, v12, v4
	v_med3_i32 v12, v16, 0, 13
	s_mul_u64 s[6:7], s[4:5], 12
	v_mov_b32_e32 v7, v9
	v_or_b32_e32 v16, 0x1000, v4
	v_lshrrev_b32_e32 v17, v10, v15
	v_mad_co_u64_u32 v[1:2], null, s5, v33, v[2:3]
	s_delay_alu instid0(VALU_DEP_3) | instskip(NEXT) | instid1(VALU_DEP_3)
	v_lshrrev_b32_e32 v18, v12, v16
	v_lshlrev_b32_e32 v2, v10, v17
	v_add_nc_u32_e32 v10, 0xfffffc10, v11
	v_add_nc_u32_e32 v11, 0xfffffc10, v13
	v_mov_b32_e32 v9, v1
	v_lshlrev_b32_e32 v1, v12, v18
	v_cmp_ne_u32_e32 vcc_lo, v2, v15
	v_lshrrev_b32_e32 v15, 16, v3
	s_wait_alu 0xfffd
	v_cndmask_b32_e64 v12, 0, 1, vcc_lo
	v_cmp_ne_u32_e32 vcc_lo, v1, v16
	v_lshlrev_b64_e32 v[1:2], 2, v[6:7]
	v_lshl_or_b32 v6, v10, 12, v14
	s_delay_alu instid0(VALU_DEP_4) | instskip(SKIP_4) | instid1(VALU_DEP_3)
	v_or_b32_e32 v7, v17, v12
	s_wait_alu 0xfffd
	v_cndmask_b32_e64 v13, 0, 1, vcc_lo
	v_cmp_gt_i32_e32 vcc_lo, 1, v10
	v_lshl_or_b32 v12, v11, 12, v4
	v_or_b32_e32 v13, v18, v13
	s_wait_alu 0xfffd
	v_cndmask_b32_e32 v3, v6, v7, vcc_lo
	v_cmp_gt_i32_e32 vcc_lo, 1, v11
	s_wait_alu 0xfffd
	v_cndmask_b32_e32 v6, v12, v13, vcc_lo
	v_cmp_ne_u32_e32 vcc_lo, 0, v14
	v_and_b32_e32 v12, 7, v3
	v_lshrrev_b32_e32 v3, 2, v3
	s_delay_alu instid0(VALU_DEP_4)
	v_and_b32_e32 v13, 7, v6
	s_wait_alu 0xfffd
	v_cndmask_b32_e64 v7, 0, 1, vcc_lo
	v_cmp_ne_u32_e32 vcc_lo, 0, v4
	v_cmp_eq_u32_e64 s0, 3, v12
	v_lshrrev_b32_e32 v6, 2, v6
	v_cmp_lt_i32_e64 s1, 5, v13
	v_cmp_eq_u32_e64 s2, 3, v13
	s_wait_alu 0xfffd
	v_cndmask_b32_e64 v4, 0, 1, vcc_lo
	v_cmp_lt_i32_e32 vcc_lo, 5, v12
	v_lshl_or_b32 v7, v7, 9, 0x7c00
	s_delay_alu instid0(VALU_DEP_3)
	v_lshl_or_b32 v12, v4, 9, 0x7c00
	s_or_b32 vcc_lo, s0, vcc_lo
	s_wait_alu 0xfffe
	v_add_co_ci_u32_e32 v3, vcc_lo, 0, v3, vcc_lo
	s_or_b32 vcc_lo, s2, s1
	s_wait_alu 0xfffe
	v_add_co_ci_u32_e32 v6, vcc_lo, 0, v6, vcc_lo
	v_cmp_gt_i32_e32 vcc_lo, 31, v10
	s_wait_alu 0xfffd
	v_cndmask_b32_e32 v3, 0x7c00, v3, vcc_lo
	v_cmp_gt_i32_e32 vcc_lo, 31, v11
	s_wait_alu 0xfffd
	v_cndmask_b32_e32 v6, 0x7c00, v6, vcc_lo
	v_cmp_eq_u32_e32 vcc_lo, 0x40f, v10
	s_wait_alu 0xfffd
	v_cndmask_b32_e32 v7, v3, v7, vcc_lo
	v_cmp_eq_u32_e32 vcc_lo, 0x40f, v11
	v_lshlrev_b64_e32 v[3:4], 2, v[8:9]
	s_delay_alu instid0(VALU_DEP_3)
	v_and_or_b32 v7, 0x8000, v15, v7
	s_wait_alu 0xfffd
	v_cndmask_b32_e32 v6, v6, v12, vcc_lo
	v_add_co_u32 v1, vcc_lo, s14, v1
	s_wait_alu 0xfffd
	v_add_co_ci_u32_e32 v2, vcc_lo, s15, v2, vcc_lo
	s_delay_alu instid0(VALU_DEP_3) | instskip(SKIP_4) | instid1(VALU_DEP_3)
	v_and_or_b32 v8, 0x8000, v5, v6
	v_and_b32_e32 v7, 0xffff, v7
	v_add_co_u32 v5, vcc_lo, v1, v3
	s_wait_alu 0xfffd
	v_add_co_ci_u32_e32 v6, vcc_lo, v2, v4, vcc_lo
	v_lshl_or_b32 v3, v8, 16, v7
	global_store_b32 v[5:6], v3, off
	global_load_b32 v4, v28, s[12:13] offset:12
	v_lshl_add_u32 v3, v32, 2, v28
	ds_load_2addr_b32 v[7:8], v3 offset0:3 offset1:6
	s_wait_dscnt 0x0
	v_lshrrev_b32_e32 v9, 16, v7
	s_wait_loadcnt 0x0
	v_lshrrev_b32_e32 v10, 16, v4
	s_delay_alu instid0(VALU_DEP_1) | instskip(SKIP_1) | instid1(VALU_DEP_2)
	v_mul_f16_e32 v11, v9, v10
	v_mul_f16_e32 v10, v7, v10
	v_fmac_f16_e32 v11, v7, v4
	s_delay_alu instid0(VALU_DEP_2) | instskip(NEXT) | instid1(VALU_DEP_2)
	v_fma_f16 v4, v4, v9, -v10
	v_cvt_f32_f16_e32 v7, v11
	s_delay_alu instid0(VALU_DEP_2) | instskip(NEXT) | instid1(VALU_DEP_2)
	v_cvt_f32_f16_e32 v4, v4
	v_cvt_f64_f32_e32 v[9:10], v7
	s_delay_alu instid0(VALU_DEP_2) | instskip(NEXT) | instid1(VALU_DEP_2)
	v_cvt_f64_f32_e32 v[11:12], v4
	v_mul_f64_e32 v[9:10], s[8:9], v[9:10]
	s_delay_alu instid0(VALU_DEP_2) | instskip(NEXT) | instid1(VALU_DEP_2)
	v_mul_f64_e32 v[11:12], s[8:9], v[11:12]
	v_and_or_b32 v4, 0x1ff, v10, v9
	s_delay_alu instid0(VALU_DEP_2)
	v_and_or_b32 v11, 0x1ff, v12, v11
	v_lshrrev_b32_e32 v7, 8, v10
	v_bfe_u32 v9, v10, 20, 11
	v_lshrrev_b32_e32 v13, 8, v12
	v_cmp_ne_u32_e32 vcc_lo, 0, v4
	v_bfe_u32 v14, v12, 20, 11
	v_lshrrev_b32_e32 v10, 16, v10
	v_sub_nc_u32_e32 v15, 0x3f1, v9
	v_add_nc_u32_e32 v9, 0xfffffc10, v9
	s_wait_alu 0xfffd
	v_cndmask_b32_e64 v4, 0, 1, vcc_lo
	v_cmp_ne_u32_e32 vcc_lo, 0, v11
	s_delay_alu instid0(VALU_DEP_2) | instskip(SKIP_4) | instid1(VALU_DEP_3)
	v_and_or_b32 v4, 0xffe, v7, v4
	s_wait_alu 0xfffd
	v_cndmask_b32_e64 v11, 0, 1, vcc_lo
	v_sub_nc_u32_e32 v7, 0x3f1, v14
	v_add_nc_u32_e32 v14, 0xfffffc10, v14
	v_and_or_b32 v11, 0xffe, v13, v11
	v_med3_i32 v13, v15, 0, 13
	v_or_b32_e32 v15, 0x1000, v4
	v_med3_i32 v7, v7, 0, 13
	s_delay_alu instid0(VALU_DEP_4) | instskip(NEXT) | instid1(VALU_DEP_3)
	v_or_b32_e32 v16, 0x1000, v11
	v_lshrrev_b32_e32 v17, v13, v15
	s_delay_alu instid0(VALU_DEP_2) | instskip(NEXT) | instid1(VALU_DEP_2)
	v_lshrrev_b32_e32 v18, v7, v16
	v_lshlrev_b32_e32 v13, v13, v17
	s_delay_alu instid0(VALU_DEP_2) | instskip(NEXT) | instid1(VALU_DEP_2)
	v_lshlrev_b32_e32 v7, v7, v18
	v_cmp_ne_u32_e32 vcc_lo, v13, v15
	v_lshl_or_b32 v15, v9, 12, v4
	s_wait_alu 0xfffd
	v_cndmask_b32_e64 v13, 0, 1, vcc_lo
	v_cmp_ne_u32_e32 vcc_lo, v7, v16
	v_lshl_or_b32 v16, v14, 12, v11
	s_delay_alu instid0(VALU_DEP_3) | instskip(SKIP_3) | instid1(VALU_DEP_2)
	v_or_b32_e32 v13, v17, v13
	s_wait_alu 0xfffd
	v_cndmask_b32_e64 v7, 0, 1, vcc_lo
	v_cmp_gt_i32_e32 vcc_lo, 1, v9
	v_or_b32_e32 v7, v18, v7
	s_wait_alu 0xfffd
	v_cndmask_b32_e32 v13, v15, v13, vcc_lo
	v_cmp_gt_i32_e32 vcc_lo, 1, v14
	s_delay_alu instid0(VALU_DEP_2)
	v_and_b32_e32 v15, 7, v13
	s_wait_alu 0xfffd
	v_cndmask_b32_e32 v7, v16, v7, vcc_lo
	v_cmp_ne_u32_e32 vcc_lo, 0, v4
	v_lshrrev_b32_e32 v13, 2, v13
	v_cmp_eq_u32_e64 s0, 3, v15
	s_delay_alu instid0(VALU_DEP_4)
	v_and_b32_e32 v16, 7, v7
	s_wait_alu 0xfffd
	v_cndmask_b32_e64 v4, 0, 1, vcc_lo
	v_cmp_ne_u32_e32 vcc_lo, 0, v11
	v_lshrrev_b32_e32 v7, 2, v7
	v_cmp_lt_i32_e64 s1, 5, v16
	v_cmp_eq_u32_e64 s2, 3, v16
	s_wait_alu 0xfffd
	v_cndmask_b32_e64 v11, 0, 1, vcc_lo
	v_cmp_lt_i32_e32 vcc_lo, 5, v15
	v_lshl_or_b32 v4, v4, 9, 0x7c00
	s_delay_alu instid0(VALU_DEP_3)
	v_lshl_or_b32 v11, v11, 9, 0x7c00
	s_or_b32 vcc_lo, s0, vcc_lo
	s_wait_alu 0xfffe
	v_add_co_ci_u32_e32 v13, vcc_lo, 0, v13, vcc_lo
	s_or_b32 vcc_lo, s2, s1
	s_wait_alu 0xfffe
	v_add_co_ci_u32_e32 v7, vcc_lo, 0, v7, vcc_lo
	v_cmp_gt_i32_e32 vcc_lo, 31, v9
	s_wait_alu 0xfffd
	v_cndmask_b32_e32 v13, 0x7c00, v13, vcc_lo
	v_cmp_gt_i32_e32 vcc_lo, 31, v14
	s_wait_alu 0xfffd
	v_cndmask_b32_e32 v7, 0x7c00, v7, vcc_lo
	v_cmp_eq_u32_e32 vcc_lo, 0x40f, v9
	v_lshrrev_b32_e32 v9, 16, v12
	s_wait_alu 0xfffd
	v_cndmask_b32_e32 v4, v13, v4, vcc_lo
	v_cmp_eq_u32_e32 vcc_lo, 0x40f, v14
	s_delay_alu instid0(VALU_DEP_2) | instskip(SKIP_2) | instid1(VALU_DEP_1)
	v_and_or_b32 v4, 0x8000, v10, v4
	s_wait_alu 0xfffd
	v_cndmask_b32_e32 v7, v7, v11, vcc_lo
	v_and_or_b32 v7, 0x8000, v9, v7
	s_delay_alu instid0(VALU_DEP_3) | instskip(SKIP_3) | instid1(VALU_DEP_3)
	v_and_b32_e32 v9, 0xffff, v4
	v_add_co_u32 v4, vcc_lo, v5, s6
	s_wait_alu 0xfffd
	v_add_co_ci_u32_e32 v5, vcc_lo, s7, v6, vcc_lo
	v_lshl_or_b32 v6, v7, 16, v9
	v_lshrrev_b32_e32 v7, 16, v8
	global_store_b32 v[4:5], v6, off
	global_load_b32 v6, v28, s[12:13] offset:24
	s_wait_loadcnt 0x0
	v_lshrrev_b32_e32 v9, 16, v6
	s_delay_alu instid0(VALU_DEP_1) | instskip(SKIP_1) | instid1(VALU_DEP_2)
	v_mul_f16_e32 v10, v7, v9
	v_mul_f16_e32 v9, v8, v9
	v_fmac_f16_e32 v10, v8, v6
	s_delay_alu instid0(VALU_DEP_2) | instskip(NEXT) | instid1(VALU_DEP_2)
	v_fma_f16 v6, v6, v7, -v9
	v_cvt_f32_f16_e32 v7, v10
	s_delay_alu instid0(VALU_DEP_2) | instskip(NEXT) | instid1(VALU_DEP_2)
	v_cvt_f32_f16_e32 v8, v6
	v_cvt_f64_f32_e32 v[6:7], v7
	s_delay_alu instid0(VALU_DEP_2) | instskip(NEXT) | instid1(VALU_DEP_2)
	v_cvt_f64_f32_e32 v[8:9], v8
	v_mul_f64_e32 v[6:7], s[8:9], v[6:7]
	s_delay_alu instid0(VALU_DEP_2) | instskip(NEXT) | instid1(VALU_DEP_2)
	v_mul_f64_e32 v[8:9], s[8:9], v[8:9]
	v_and_or_b32 v6, 0x1ff, v7, v6
	s_delay_alu instid0(VALU_DEP_2)
	v_and_or_b32 v8, 0x1ff, v9, v8
	v_lshrrev_b32_e32 v10, 8, v7
	v_bfe_u32 v11, v7, 20, 11
	v_lshrrev_b32_e32 v12, 8, v9
	v_cmp_ne_u32_e32 vcc_lo, 0, v6
	v_bfe_u32 v13, v9, 20, 11
	v_lshrrev_b32_e32 v7, 16, v7
	v_sub_nc_u32_e32 v14, 0x3f1, v11
	v_add_nc_u32_e32 v11, 0xfffffc10, v11
	s_wait_alu 0xfffd
	v_cndmask_b32_e64 v6, 0, 1, vcc_lo
	v_cmp_ne_u32_e32 vcc_lo, 0, v8
	v_lshrrev_b32_e32 v9, 16, v9
	s_delay_alu instid0(VALU_DEP_3) | instskip(SKIP_4) | instid1(VALU_DEP_3)
	v_and_or_b32 v6, 0xffe, v10, v6
	s_wait_alu 0xfffd
	v_cndmask_b32_e64 v8, 0, 1, vcc_lo
	v_sub_nc_u32_e32 v10, 0x3f1, v13
	v_add_nc_u32_e32 v13, 0xfffffc10, v13
	v_and_or_b32 v8, 0xffe, v12, v8
	v_med3_i32 v12, v14, 0, 13
	v_or_b32_e32 v14, 0x1000, v6
	v_med3_i32 v10, v10, 0, 13
	s_delay_alu instid0(VALU_DEP_4) | instskip(NEXT) | instid1(VALU_DEP_3)
	v_or_b32_e32 v15, 0x1000, v8
	v_lshrrev_b32_e32 v16, v12, v14
	s_delay_alu instid0(VALU_DEP_2) | instskip(NEXT) | instid1(VALU_DEP_2)
	v_lshrrev_b32_e32 v17, v10, v15
	v_lshlrev_b32_e32 v12, v12, v16
	s_delay_alu instid0(VALU_DEP_2) | instskip(NEXT) | instid1(VALU_DEP_2)
	v_lshlrev_b32_e32 v10, v10, v17
	v_cmp_ne_u32_e32 vcc_lo, v12, v14
	v_lshl_or_b32 v14, v11, 12, v6
	s_wait_alu 0xfffd
	v_cndmask_b32_e64 v12, 0, 1, vcc_lo
	v_cmp_ne_u32_e32 vcc_lo, v10, v15
	v_lshl_or_b32 v15, v13, 12, v8
	s_delay_alu instid0(VALU_DEP_3) | instskip(SKIP_3) | instid1(VALU_DEP_2)
	v_or_b32_e32 v12, v16, v12
	s_wait_alu 0xfffd
	v_cndmask_b32_e64 v10, 0, 1, vcc_lo
	v_cmp_gt_i32_e32 vcc_lo, 1, v11
	v_or_b32_e32 v10, v17, v10
	s_wait_alu 0xfffd
	v_cndmask_b32_e32 v12, v14, v12, vcc_lo
	v_cmp_gt_i32_e32 vcc_lo, 1, v13
	s_delay_alu instid0(VALU_DEP_2)
	v_and_b32_e32 v14, 7, v12
	s_wait_alu 0xfffd
	v_cndmask_b32_e32 v10, v15, v10, vcc_lo
	v_cmp_ne_u32_e32 vcc_lo, 0, v6
	v_lshrrev_b32_e32 v12, 2, v12
	v_cmp_eq_u32_e64 s0, 3, v14
	s_delay_alu instid0(VALU_DEP_4)
	v_and_b32_e32 v15, 7, v10
	s_wait_alu 0xfffd
	v_cndmask_b32_e64 v6, 0, 1, vcc_lo
	v_cmp_ne_u32_e32 vcc_lo, 0, v8
	v_lshrrev_b32_e32 v10, 2, v10
	v_cmp_lt_i32_e64 s1, 5, v15
	v_cmp_eq_u32_e64 s2, 3, v15
	s_wait_alu 0xfffd
	v_cndmask_b32_e64 v8, 0, 1, vcc_lo
	v_cmp_lt_i32_e32 vcc_lo, 5, v14
	v_lshl_or_b32 v6, v6, 9, 0x7c00
	s_delay_alu instid0(VALU_DEP_3)
	v_lshl_or_b32 v8, v8, 9, 0x7c00
	s_or_b32 vcc_lo, s0, vcc_lo
	s_wait_alu 0xfffe
	v_add_co_ci_u32_e32 v12, vcc_lo, 0, v12, vcc_lo
	s_or_b32 vcc_lo, s2, s1
	s_wait_alu 0xfffe
	v_add_co_ci_u32_e32 v10, vcc_lo, 0, v10, vcc_lo
	v_cmp_gt_i32_e32 vcc_lo, 31, v11
	s_wait_alu 0xfffd
	v_cndmask_b32_e32 v12, 0x7c00, v12, vcc_lo
	v_cmp_gt_i32_e32 vcc_lo, 31, v13
	s_wait_alu 0xfffd
	v_cndmask_b32_e32 v10, 0x7c00, v10, vcc_lo
	v_cmp_eq_u32_e32 vcc_lo, 0x40f, v11
	s_wait_alu 0xfffd
	v_cndmask_b32_e32 v6, v12, v6, vcc_lo
	v_cmp_eq_u32_e32 vcc_lo, 0x40f, v13
	s_delay_alu instid0(VALU_DEP_2)
	v_and_or_b32 v6, 0x8000, v7, v6
	s_wait_alu 0xfffd
	v_cndmask_b32_e32 v8, v10, v8, vcc_lo
	v_add_co_u32 v4, vcc_lo, v4, s6
	s_wait_alu 0xfffd
	v_add_co_ci_u32_e32 v5, vcc_lo, s7, v5, vcc_lo
	s_delay_alu instid0(VALU_DEP_3) | instskip(SKIP_1) | instid1(VALU_DEP_1)
	v_and_or_b32 v7, 0x8000, v9, v8
	v_and_b32_e32 v6, 0xffff, v6
	v_lshl_or_b32 v6, v7, 16, v6
	global_store_b32 v[4:5], v6, off
	global_load_b32 v8, v28, s[12:13] offset:36
	ds_load_2addr_b32 v[6:7], v3 offset0:9 offset1:12
	s_wait_dscnt 0x0
	v_lshrrev_b32_e32 v9, 16, v6
	s_wait_loadcnt 0x0
	v_lshrrev_b32_e32 v10, 16, v8
	s_delay_alu instid0(VALU_DEP_1) | instskip(SKIP_1) | instid1(VALU_DEP_2)
	v_mul_f16_e32 v11, v9, v10
	v_mul_f16_e32 v10, v6, v10
	v_fmac_f16_e32 v11, v6, v8
	s_delay_alu instid0(VALU_DEP_2) | instskip(NEXT) | instid1(VALU_DEP_2)
	v_fma_f16 v6, v8, v9, -v10
	v_cvt_f32_f16_e32 v8, v11
	s_delay_alu instid0(VALU_DEP_2) | instskip(NEXT) | instid1(VALU_DEP_2)
	v_cvt_f32_f16_e32 v6, v6
	v_cvt_f64_f32_e32 v[8:9], v8
	s_delay_alu instid0(VALU_DEP_2) | instskip(NEXT) | instid1(VALU_DEP_2)
	v_cvt_f64_f32_e32 v[10:11], v6
	v_mul_f64_e32 v[8:9], s[8:9], v[8:9]
	s_delay_alu instid0(VALU_DEP_2) | instskip(NEXT) | instid1(VALU_DEP_2)
	v_mul_f64_e32 v[10:11], s[8:9], v[10:11]
	v_and_or_b32 v6, 0x1ff, v9, v8
	s_delay_alu instid0(VALU_DEP_2)
	v_and_or_b32 v10, 0x1ff, v11, v10
	v_lshrrev_b32_e32 v8, 8, v9
	v_bfe_u32 v12, v9, 20, 11
	v_lshrrev_b32_e32 v13, 8, v11
	v_cmp_ne_u32_e32 vcc_lo, 0, v6
	v_bfe_u32 v14, v11, 20, 11
	v_lshrrev_b32_e32 v9, 16, v9
	v_sub_nc_u32_e32 v15, 0x3f1, v12
	v_add_nc_u32_e32 v12, 0xfffffc10, v12
	s_wait_alu 0xfffd
	v_cndmask_b32_e64 v6, 0, 1, vcc_lo
	v_cmp_ne_u32_e32 vcc_lo, 0, v10
	v_lshrrev_b32_e32 v11, 16, v11
	s_delay_alu instid0(VALU_DEP_3) | instskip(SKIP_4) | instid1(VALU_DEP_3)
	v_and_or_b32 v6, 0xffe, v8, v6
	s_wait_alu 0xfffd
	v_cndmask_b32_e64 v10, 0, 1, vcc_lo
	v_sub_nc_u32_e32 v8, 0x3f1, v14
	v_add_nc_u32_e32 v14, 0xfffffc10, v14
	v_and_or_b32 v10, 0xffe, v13, v10
	v_med3_i32 v13, v15, 0, 13
	v_or_b32_e32 v15, 0x1000, v6
	v_med3_i32 v8, v8, 0, 13
	s_delay_alu instid0(VALU_DEP_4) | instskip(NEXT) | instid1(VALU_DEP_3)
	v_or_b32_e32 v16, 0x1000, v10
	v_lshrrev_b32_e32 v17, v13, v15
	s_delay_alu instid0(VALU_DEP_2) | instskip(NEXT) | instid1(VALU_DEP_2)
	v_lshrrev_b32_e32 v18, v8, v16
	v_lshlrev_b32_e32 v13, v13, v17
	s_delay_alu instid0(VALU_DEP_2) | instskip(NEXT) | instid1(VALU_DEP_2)
	v_lshlrev_b32_e32 v8, v8, v18
	v_cmp_ne_u32_e32 vcc_lo, v13, v15
	v_lshl_or_b32 v15, v12, 12, v6
	s_wait_alu 0xfffd
	v_cndmask_b32_e64 v13, 0, 1, vcc_lo
	v_cmp_ne_u32_e32 vcc_lo, v8, v16
	v_lshl_or_b32 v16, v14, 12, v10
	s_delay_alu instid0(VALU_DEP_3) | instskip(SKIP_3) | instid1(VALU_DEP_2)
	v_or_b32_e32 v13, v17, v13
	s_wait_alu 0xfffd
	v_cndmask_b32_e64 v8, 0, 1, vcc_lo
	v_cmp_gt_i32_e32 vcc_lo, 1, v12
	v_or_b32_e32 v8, v18, v8
	s_wait_alu 0xfffd
	v_cndmask_b32_e32 v13, v15, v13, vcc_lo
	v_cmp_gt_i32_e32 vcc_lo, 1, v14
	s_wait_alu 0xfffd
	s_delay_alu instid0(VALU_DEP_2) | instskip(SKIP_2) | instid1(VALU_DEP_3)
	v_dual_cndmask_b32 v8, v16, v8 :: v_dual_and_b32 v15, 7, v13
	v_cmp_ne_u32_e32 vcc_lo, 0, v6
	v_lshrrev_b32_e32 v13, 2, v13
	v_cmp_eq_u32_e64 s0, 3, v15
	s_delay_alu instid0(VALU_DEP_4)
	v_and_b32_e32 v16, 7, v8
	s_wait_alu 0xfffd
	v_cndmask_b32_e64 v6, 0, 1, vcc_lo
	v_cmp_ne_u32_e32 vcc_lo, 0, v10
	v_lshrrev_b32_e32 v8, 2, v8
	v_cmp_lt_i32_e64 s1, 5, v16
	v_cmp_eq_u32_e64 s2, 3, v16
	s_wait_alu 0xfffd
	v_cndmask_b32_e64 v10, 0, 1, vcc_lo
	v_cmp_lt_i32_e32 vcc_lo, 5, v15
	v_lshl_or_b32 v6, v6, 9, 0x7c00
	s_delay_alu instid0(VALU_DEP_3)
	v_lshl_or_b32 v10, v10, 9, 0x7c00
	s_or_b32 vcc_lo, s0, vcc_lo
	s_wait_alu 0xfffe
	v_add_co_ci_u32_e32 v13, vcc_lo, 0, v13, vcc_lo
	s_or_b32 vcc_lo, s2, s1
	s_wait_alu 0xfffe
	v_add_co_ci_u32_e32 v8, vcc_lo, 0, v8, vcc_lo
	v_cmp_gt_i32_e32 vcc_lo, 31, v12
	s_wait_alu 0xfffd
	v_cndmask_b32_e32 v13, 0x7c00, v13, vcc_lo
	v_cmp_gt_i32_e32 vcc_lo, 31, v14
	s_wait_alu 0xfffd
	v_cndmask_b32_e32 v8, 0x7c00, v8, vcc_lo
	v_cmp_eq_u32_e32 vcc_lo, 0x40f, v12
	s_wait_alu 0xfffd
	v_cndmask_b32_e32 v6, v13, v6, vcc_lo
	v_cmp_eq_u32_e32 vcc_lo, 0x40f, v14
	s_delay_alu instid0(VALU_DEP_2)
	v_and_or_b32 v6, 0x8000, v9, v6
	s_wait_alu 0xfffd
	v_cndmask_b32_e32 v8, v8, v10, vcc_lo
	v_add_co_u32 v4, vcc_lo, v4, s6
	s_wait_alu 0xfffd
	v_add_co_ci_u32_e32 v5, vcc_lo, s7, v5, vcc_lo
	s_delay_alu instid0(VALU_DEP_3) | instskip(SKIP_1) | instid1(VALU_DEP_1)
	v_and_or_b32 v8, 0x8000, v11, v8
	v_and_b32_e32 v6, 0xffff, v6
	v_lshl_or_b32 v6, v8, 16, v6
	v_lshrrev_b32_e32 v8, 16, v7
	global_store_b32 v[4:5], v6, off
	global_load_b32 v6, v28, s[12:13] offset:48
	s_wait_loadcnt 0x0
	v_lshrrev_b32_e32 v9, 16, v6
	s_delay_alu instid0(VALU_DEP_1) | instskip(SKIP_1) | instid1(VALU_DEP_2)
	v_mul_f16_e32 v10, v8, v9
	v_mul_f16_e32 v9, v7, v9
	v_fmac_f16_e32 v10, v7, v6
	s_delay_alu instid0(VALU_DEP_2) | instskip(NEXT) | instid1(VALU_DEP_2)
	v_fma_f16 v6, v6, v8, -v9
	v_cvt_f32_f16_e32 v7, v10
	s_delay_alu instid0(VALU_DEP_2) | instskip(NEXT) | instid1(VALU_DEP_2)
	v_cvt_f32_f16_e32 v8, v6
	v_cvt_f64_f32_e32 v[6:7], v7
	s_delay_alu instid0(VALU_DEP_2) | instskip(NEXT) | instid1(VALU_DEP_2)
	v_cvt_f64_f32_e32 v[8:9], v8
	v_mul_f64_e32 v[6:7], s[8:9], v[6:7]
	s_delay_alu instid0(VALU_DEP_2) | instskip(NEXT) | instid1(VALU_DEP_2)
	v_mul_f64_e32 v[8:9], s[8:9], v[8:9]
	v_and_or_b32 v6, 0x1ff, v7, v6
	s_delay_alu instid0(VALU_DEP_2)
	v_and_or_b32 v8, 0x1ff, v9, v8
	v_lshrrev_b32_e32 v10, 8, v7
	v_bfe_u32 v12, v7, 20, 11
	v_bfe_u32 v13, v9, 20, 11
	v_cmp_ne_u32_e32 vcc_lo, 0, v6
	v_lshrrev_b32_e32 v11, 8, v9
	v_lshrrev_b32_e32 v9, 16, v9
	v_sub_nc_u32_e32 v14, 0x3f1, v12
	v_sub_nc_u32_e32 v15, 0x3f1, v13
	s_wait_alu 0xfffd
	v_cndmask_b32_e64 v6, 0, 1, vcc_lo
	v_cmp_ne_u32_e32 vcc_lo, 0, v8
	v_add_nc_u32_e32 v13, 0xfffffc10, v13
	s_delay_alu instid0(VALU_DEP_3)
	v_and_or_b32 v16, 0xffe, v10, v6
	s_wait_alu 0xfffd
	v_cndmask_b32_e64 v8, 0, 1, vcc_lo
	v_med3_i32 v6, v14, 0, 13
	v_med3_i32 v14, v15, 0, 13
	v_or_b32_e32 v15, 0x1000, v16
	s_delay_alu instid0(VALU_DEP_4) | instskip(SKIP_1) | instid1(VALU_DEP_3)
	v_and_or_b32 v8, 0xffe, v11, v8
	v_mad_co_u64_u32 v[10:11], null, s4, v31, 0
	v_lshrrev_b32_e32 v18, v6, v15
	s_delay_alu instid0(VALU_DEP_3) | instskip(NEXT) | instid1(VALU_DEP_2)
	v_or_b32_e32 v17, 0x1000, v8
	v_lshlrev_b32_e32 v20, v6, v18
	s_delay_alu instid0(VALU_DEP_2) | instskip(SKIP_1) | instid1(VALU_DEP_3)
	v_lshrrev_b32_e32 v19, v14, v17
	v_mov_b32_e32 v6, v11
	v_cmp_ne_u32_e32 vcc_lo, v20, v15
	s_delay_alu instid0(VALU_DEP_3) | instskip(SKIP_3) | instid1(VALU_DEP_3)
	v_lshlrev_b32_e32 v11, v14, v19
	v_add_nc_u32_e32 v14, 0xfffffc10, v12
	s_wait_alu 0xfffd
	v_cndmask_b32_e64 v15, 0, 1, vcc_lo
	v_cmp_ne_u32_e32 vcc_lo, v11, v17
	v_mad_co_u64_u32 v[11:12], null, s5, v31, v[6:7]
	v_lshl_or_b32 v6, v14, 12, v16
	s_delay_alu instid0(VALU_DEP_4)
	v_or_b32_e32 v12, v18, v15
	s_wait_alu 0xfffd
	v_cndmask_b32_e64 v17, 0, 1, vcc_lo
	v_cmp_gt_i32_e32 vcc_lo, 1, v14
	v_lshl_or_b32 v15, v13, 12, v8
	v_lshrrev_b32_e32 v7, 16, v7
	s_delay_alu instid0(VALU_DEP_4)
	v_or_b32_e32 v17, v19, v17
	s_wait_alu 0xfffd
	v_cndmask_b32_e32 v6, v6, v12, vcc_lo
	v_cmp_gt_i32_e32 vcc_lo, 1, v13
	s_wait_alu 0xfffd
	v_cndmask_b32_e32 v12, v15, v17, vcc_lo
	v_cmp_ne_u32_e32 vcc_lo, 0, v16
	v_and_b32_e32 v16, 7, v6
	v_lshrrev_b32_e32 v6, 2, v6
	s_wait_alu 0xfffd
	v_cndmask_b32_e64 v15, 0, 1, vcc_lo
	v_cmp_ne_u32_e32 vcc_lo, 0, v8
	v_cmp_eq_u32_e64 s0, 3, v16
	s_delay_alu instid0(VALU_DEP_3) | instskip(SKIP_3) | instid1(VALU_DEP_2)
	v_lshl_or_b32 v15, v15, 9, 0x7c00
	s_wait_alu 0xfffd
	v_cndmask_b32_e64 v8, 0, 1, vcc_lo
	v_cmp_lt_i32_e32 vcc_lo, 5, v16
	v_lshl_or_b32 v8, v8, 9, 0x7c00
	s_or_b32 vcc_lo, s0, vcc_lo
	s_wait_alu 0xfffe
	v_add_co_ci_u32_e32 v6, vcc_lo, 0, v6, vcc_lo
	v_and_b32_e32 v17, 7, v12
	v_lshrrev_b32_e32 v12, 2, v12
	s_delay_alu instid0(VALU_DEP_2) | instskip(SKIP_1) | instid1(VALU_DEP_1)
	v_cmp_lt_i32_e64 s1, 5, v17
	v_cmp_eq_u32_e64 s2, 3, v17
	s_or_b32 vcc_lo, s2, s1
	s_wait_alu 0xfffe
	v_add_co_ci_u32_e32 v12, vcc_lo, 0, v12, vcc_lo
	v_cmp_gt_i32_e32 vcc_lo, 31, v14
	s_wait_alu 0xfffd
	v_cndmask_b32_e32 v6, 0x7c00, v6, vcc_lo
	v_cmp_gt_i32_e32 vcc_lo, 31, v13
	s_wait_alu 0xfffd
	v_cndmask_b32_e32 v12, 0x7c00, v12, vcc_lo
	v_cmp_eq_u32_e32 vcc_lo, 0x40f, v14
	s_wait_alu 0xfffd
	v_cndmask_b32_e32 v6, v6, v15, vcc_lo
	v_cmp_eq_u32_e32 vcc_lo, 0x40f, v13
	s_wait_alu 0xfffd
	v_cndmask_b32_e32 v8, v12, v8, vcc_lo
	s_delay_alu instid0(VALU_DEP_3) | instskip(SKIP_1) | instid1(VALU_DEP_3)
	v_and_or_b32 v12, 0x8000, v7, v6
	v_lshlrev_b64_e32 v[6:7], 2, v[10:11]
	v_and_or_b32 v8, 0x8000, v9, v8
	s_delay_alu instid0(VALU_DEP_3) | instskip(NEXT) | instid1(VALU_DEP_3)
	v_and_b32_e32 v9, 0xffff, v12
	v_add_co_u32 v6, vcc_lo, v1, v6
	s_wait_alu 0xfffd
	s_delay_alu instid0(VALU_DEP_4) | instskip(NEXT) | instid1(VALU_DEP_3)
	v_add_co_ci_u32_e32 v7, vcc_lo, v2, v7, vcc_lo
	v_lshl_or_b32 v8, v8, 16, v9
	global_store_b32 v[6:7], v8, off
	global_load_b32 v8, v28, s[12:13] offset:60
	ds_load_2addr_b32 v[6:7], v3 offset0:15 offset1:18
	s_wait_dscnt 0x0
	v_lshrrev_b32_e32 v9, 16, v6
	s_wait_loadcnt 0x0
	v_lshrrev_b32_e32 v10, 16, v8
	s_delay_alu instid0(VALU_DEP_1) | instskip(SKIP_1) | instid1(VALU_DEP_2)
	v_mul_f16_e32 v11, v9, v10
	v_mul_f16_e32 v10, v6, v10
	v_fmac_f16_e32 v11, v6, v8
	s_delay_alu instid0(VALU_DEP_2) | instskip(NEXT) | instid1(VALU_DEP_2)
	v_fma_f16 v6, v8, v9, -v10
	v_cvt_f32_f16_e32 v8, v11
	s_delay_alu instid0(VALU_DEP_2) | instskip(NEXT) | instid1(VALU_DEP_2)
	v_cvt_f32_f16_e32 v6, v6
	v_cvt_f64_f32_e32 v[8:9], v8
	s_delay_alu instid0(VALU_DEP_2) | instskip(NEXT) | instid1(VALU_DEP_2)
	v_cvt_f64_f32_e32 v[10:11], v6
	v_mul_f64_e32 v[8:9], s[8:9], v[8:9]
	s_delay_alu instid0(VALU_DEP_2) | instskip(NEXT) | instid1(VALU_DEP_2)
	v_mul_f64_e32 v[10:11], s[8:9], v[10:11]
	v_and_or_b32 v6, 0x1ff, v9, v8
	s_delay_alu instid0(VALU_DEP_2)
	v_and_or_b32 v10, 0x1ff, v11, v10
	v_lshrrev_b32_e32 v8, 8, v9
	v_bfe_u32 v12, v9, 20, 11
	v_lshrrev_b32_e32 v13, 8, v11
	v_cmp_ne_u32_e32 vcc_lo, 0, v6
	v_bfe_u32 v14, v11, 20, 11
	v_lshrrev_b32_e32 v9, 16, v9
	v_sub_nc_u32_e32 v15, 0x3f1, v12
	v_add_nc_u32_e32 v12, 0xfffffc10, v12
	s_wait_alu 0xfffd
	v_cndmask_b32_e64 v6, 0, 1, vcc_lo
	v_cmp_ne_u32_e32 vcc_lo, 0, v10
	v_lshrrev_b32_e32 v11, 16, v11
	s_delay_alu instid0(VALU_DEP_3) | instskip(SKIP_4) | instid1(VALU_DEP_3)
	v_and_or_b32 v6, 0xffe, v8, v6
	s_wait_alu 0xfffd
	v_cndmask_b32_e64 v10, 0, 1, vcc_lo
	v_sub_nc_u32_e32 v8, 0x3f1, v14
	v_add_nc_u32_e32 v14, 0xfffffc10, v14
	v_and_or_b32 v10, 0xffe, v13, v10
	v_med3_i32 v13, v15, 0, 13
	v_or_b32_e32 v15, 0x1000, v6
	v_med3_i32 v8, v8, 0, 13
	s_delay_alu instid0(VALU_DEP_4) | instskip(NEXT) | instid1(VALU_DEP_3)
	v_or_b32_e32 v16, 0x1000, v10
	v_lshrrev_b32_e32 v17, v13, v15
	s_delay_alu instid0(VALU_DEP_2) | instskip(NEXT) | instid1(VALU_DEP_2)
	v_lshrrev_b32_e32 v18, v8, v16
	v_lshlrev_b32_e32 v13, v13, v17
	s_delay_alu instid0(VALU_DEP_2) | instskip(NEXT) | instid1(VALU_DEP_2)
	v_lshlrev_b32_e32 v8, v8, v18
	v_cmp_ne_u32_e32 vcc_lo, v13, v15
	v_lshl_or_b32 v15, v12, 12, v6
	s_wait_alu 0xfffd
	v_cndmask_b32_e64 v13, 0, 1, vcc_lo
	v_cmp_ne_u32_e32 vcc_lo, v8, v16
	v_lshl_or_b32 v16, v14, 12, v10
	s_delay_alu instid0(VALU_DEP_3) | instskip(SKIP_3) | instid1(VALU_DEP_2)
	v_or_b32_e32 v13, v17, v13
	s_wait_alu 0xfffd
	v_cndmask_b32_e64 v8, 0, 1, vcc_lo
	v_cmp_gt_i32_e32 vcc_lo, 1, v12
	v_or_b32_e32 v8, v18, v8
	s_wait_alu 0xfffd
	v_cndmask_b32_e32 v13, v15, v13, vcc_lo
	v_cmp_gt_i32_e32 vcc_lo, 1, v14
	s_wait_alu 0xfffd
	s_delay_alu instid0(VALU_DEP_2) | instskip(SKIP_2) | instid1(VALU_DEP_3)
	v_dual_cndmask_b32 v8, v16, v8 :: v_dual_and_b32 v15, 7, v13
	v_cmp_ne_u32_e32 vcc_lo, 0, v6
	v_lshrrev_b32_e32 v13, 2, v13
	v_cmp_eq_u32_e64 s0, 3, v15
	s_delay_alu instid0(VALU_DEP_4)
	v_and_b32_e32 v16, 7, v8
	s_wait_alu 0xfffd
	v_cndmask_b32_e64 v6, 0, 1, vcc_lo
	v_cmp_ne_u32_e32 vcc_lo, 0, v10
	v_lshrrev_b32_e32 v8, 2, v8
	v_cmp_lt_i32_e64 s1, 5, v16
	v_cmp_eq_u32_e64 s2, 3, v16
	s_wait_alu 0xfffd
	v_cndmask_b32_e64 v10, 0, 1, vcc_lo
	v_cmp_lt_i32_e32 vcc_lo, 5, v15
	v_lshl_or_b32 v6, v6, 9, 0x7c00
	s_delay_alu instid0(VALU_DEP_3)
	v_lshl_or_b32 v10, v10, 9, 0x7c00
	s_or_b32 vcc_lo, s0, vcc_lo
	s_wait_alu 0xfffe
	v_add_co_ci_u32_e32 v13, vcc_lo, 0, v13, vcc_lo
	s_or_b32 vcc_lo, s2, s1
	s_wait_alu 0xfffe
	v_add_co_ci_u32_e32 v8, vcc_lo, 0, v8, vcc_lo
	v_cmp_gt_i32_e32 vcc_lo, 31, v12
	s_wait_alu 0xfffd
	v_cndmask_b32_e32 v13, 0x7c00, v13, vcc_lo
	v_cmp_gt_i32_e32 vcc_lo, 31, v14
	s_wait_alu 0xfffd
	v_cndmask_b32_e32 v8, 0x7c00, v8, vcc_lo
	v_cmp_eq_u32_e32 vcc_lo, 0x40f, v12
	s_wait_alu 0xfffd
	v_cndmask_b32_e32 v6, v13, v6, vcc_lo
	v_cmp_eq_u32_e32 vcc_lo, 0x40f, v14
	s_delay_alu instid0(VALU_DEP_2)
	v_and_or_b32 v6, 0x8000, v9, v6
	s_wait_alu 0xfffd
	v_cndmask_b32_e32 v8, v8, v10, vcc_lo
	v_add_co_u32 v4, vcc_lo, v4, s10
	s_wait_alu 0xfffd
	v_add_co_ci_u32_e32 v5, vcc_lo, s11, v5, vcc_lo
	s_delay_alu instid0(VALU_DEP_3) | instskip(SKIP_1) | instid1(VALU_DEP_1)
	v_and_or_b32 v8, 0x8000, v11, v8
	v_and_b32_e32 v6, 0xffff, v6
	v_lshl_or_b32 v6, v8, 16, v6
	v_lshrrev_b32_e32 v8, 16, v7
	global_store_b32 v[4:5], v6, off
	global_load_b32 v6, v28, s[12:13] offset:72
	s_wait_loadcnt 0x0
	v_lshrrev_b32_e32 v9, 16, v6
	s_delay_alu instid0(VALU_DEP_1) | instskip(SKIP_1) | instid1(VALU_DEP_2)
	v_mul_f16_e32 v10, v8, v9
	v_mul_f16_e32 v9, v7, v9
	v_fmac_f16_e32 v10, v7, v6
	s_delay_alu instid0(VALU_DEP_2) | instskip(NEXT) | instid1(VALU_DEP_2)
	v_fma_f16 v6, v6, v8, -v9
	v_cvt_f32_f16_e32 v7, v10
	s_delay_alu instid0(VALU_DEP_2) | instskip(NEXT) | instid1(VALU_DEP_2)
	v_cvt_f32_f16_e32 v8, v6
	v_cvt_f64_f32_e32 v[6:7], v7
	s_delay_alu instid0(VALU_DEP_2) | instskip(NEXT) | instid1(VALU_DEP_2)
	v_cvt_f64_f32_e32 v[8:9], v8
	v_mul_f64_e32 v[6:7], s[8:9], v[6:7]
	s_delay_alu instid0(VALU_DEP_2) | instskip(NEXT) | instid1(VALU_DEP_2)
	v_mul_f64_e32 v[8:9], s[8:9], v[8:9]
	v_and_or_b32 v6, 0x1ff, v7, v6
	s_delay_alu instid0(VALU_DEP_2)
	v_and_or_b32 v8, 0x1ff, v9, v8
	v_lshrrev_b32_e32 v10, 8, v7
	v_bfe_u32 v11, v7, 20, 11
	v_lshrrev_b32_e32 v12, 8, v9
	v_cmp_ne_u32_e32 vcc_lo, 0, v6
	v_bfe_u32 v13, v9, 20, 11
	v_lshrrev_b32_e32 v7, 16, v7
	v_sub_nc_u32_e32 v14, 0x3f1, v11
	v_add_nc_u32_e32 v11, 0xfffffc10, v11
	s_wait_alu 0xfffd
	v_cndmask_b32_e64 v6, 0, 1, vcc_lo
	v_cmp_ne_u32_e32 vcc_lo, 0, v8
	v_lshrrev_b32_e32 v9, 16, v9
	s_delay_alu instid0(VALU_DEP_3) | instskip(SKIP_4) | instid1(VALU_DEP_3)
	v_and_or_b32 v6, 0xffe, v10, v6
	s_wait_alu 0xfffd
	v_cndmask_b32_e64 v8, 0, 1, vcc_lo
	v_sub_nc_u32_e32 v10, 0x3f1, v13
	v_add_nc_u32_e32 v13, 0xfffffc10, v13
	v_and_or_b32 v8, 0xffe, v12, v8
	v_med3_i32 v12, v14, 0, 13
	v_or_b32_e32 v14, 0x1000, v6
	v_med3_i32 v10, v10, 0, 13
	s_delay_alu instid0(VALU_DEP_4) | instskip(NEXT) | instid1(VALU_DEP_3)
	v_or_b32_e32 v15, 0x1000, v8
	v_lshrrev_b32_e32 v16, v12, v14
	s_delay_alu instid0(VALU_DEP_2) | instskip(NEXT) | instid1(VALU_DEP_2)
	v_lshrrev_b32_e32 v17, v10, v15
	v_lshlrev_b32_e32 v12, v12, v16
	s_delay_alu instid0(VALU_DEP_2) | instskip(NEXT) | instid1(VALU_DEP_2)
	v_lshlrev_b32_e32 v10, v10, v17
	v_cmp_ne_u32_e32 vcc_lo, v12, v14
	v_lshl_or_b32 v14, v11, 12, v6
	s_wait_alu 0xfffd
	v_cndmask_b32_e64 v12, 0, 1, vcc_lo
	v_cmp_ne_u32_e32 vcc_lo, v10, v15
	v_lshl_or_b32 v15, v13, 12, v8
	s_delay_alu instid0(VALU_DEP_3) | instskip(SKIP_3) | instid1(VALU_DEP_2)
	v_or_b32_e32 v12, v16, v12
	s_wait_alu 0xfffd
	v_cndmask_b32_e64 v10, 0, 1, vcc_lo
	v_cmp_gt_i32_e32 vcc_lo, 1, v11
	v_or_b32_e32 v10, v17, v10
	s_wait_alu 0xfffd
	v_cndmask_b32_e32 v12, v14, v12, vcc_lo
	v_cmp_gt_i32_e32 vcc_lo, 1, v13
	s_delay_alu instid0(VALU_DEP_2)
	v_and_b32_e32 v14, 7, v12
	s_wait_alu 0xfffd
	v_cndmask_b32_e32 v10, v15, v10, vcc_lo
	v_cmp_ne_u32_e32 vcc_lo, 0, v6
	v_lshrrev_b32_e32 v12, 2, v12
	v_cmp_eq_u32_e64 s0, 3, v14
	s_delay_alu instid0(VALU_DEP_4)
	v_and_b32_e32 v15, 7, v10
	s_wait_alu 0xfffd
	v_cndmask_b32_e64 v6, 0, 1, vcc_lo
	v_cmp_ne_u32_e32 vcc_lo, 0, v8
	v_lshrrev_b32_e32 v10, 2, v10
	v_cmp_lt_i32_e64 s1, 5, v15
	v_cmp_eq_u32_e64 s2, 3, v15
	s_wait_alu 0xfffd
	v_cndmask_b32_e64 v8, 0, 1, vcc_lo
	v_cmp_lt_i32_e32 vcc_lo, 5, v14
	v_lshl_or_b32 v6, v6, 9, 0x7c00
	s_delay_alu instid0(VALU_DEP_3)
	v_lshl_or_b32 v8, v8, 9, 0x7c00
	s_or_b32 vcc_lo, s0, vcc_lo
	s_wait_alu 0xfffe
	v_add_co_ci_u32_e32 v12, vcc_lo, 0, v12, vcc_lo
	s_or_b32 vcc_lo, s2, s1
	s_wait_alu 0xfffe
	v_add_co_ci_u32_e32 v10, vcc_lo, 0, v10, vcc_lo
	v_cmp_gt_i32_e32 vcc_lo, 31, v11
	s_wait_alu 0xfffd
	v_cndmask_b32_e32 v12, 0x7c00, v12, vcc_lo
	v_cmp_gt_i32_e32 vcc_lo, 31, v13
	s_wait_alu 0xfffd
	v_cndmask_b32_e32 v10, 0x7c00, v10, vcc_lo
	v_cmp_eq_u32_e32 vcc_lo, 0x40f, v11
	s_wait_alu 0xfffd
	v_cndmask_b32_e32 v6, v12, v6, vcc_lo
	v_cmp_eq_u32_e32 vcc_lo, 0x40f, v13
	s_delay_alu instid0(VALU_DEP_2)
	v_and_or_b32 v6, 0x8000, v7, v6
	s_wait_alu 0xfffd
	v_cndmask_b32_e32 v8, v10, v8, vcc_lo
	v_add_co_u32 v4, vcc_lo, v4, s6
	s_wait_alu 0xfffd
	v_add_co_ci_u32_e32 v5, vcc_lo, s7, v5, vcc_lo
	s_delay_alu instid0(VALU_DEP_3) | instskip(SKIP_1) | instid1(VALU_DEP_1)
	v_and_or_b32 v7, 0x8000, v9, v8
	v_and_b32_e32 v6, 0xffff, v6
	v_lshl_or_b32 v6, v7, 16, v6
	global_store_b32 v[4:5], v6, off
	global_load_b32 v8, v28, s[12:13] offset:84
	ds_load_2addr_b32 v[6:7], v3 offset0:21 offset1:24
	s_wait_dscnt 0x0
	v_lshrrev_b32_e32 v9, 16, v6
	s_wait_loadcnt 0x0
	v_lshrrev_b32_e32 v10, 16, v8
	s_delay_alu instid0(VALU_DEP_1) | instskip(SKIP_1) | instid1(VALU_DEP_2)
	v_mul_f16_e32 v11, v9, v10
	v_mul_f16_e32 v10, v6, v10
	v_fmac_f16_e32 v11, v6, v8
	s_delay_alu instid0(VALU_DEP_2) | instskip(NEXT) | instid1(VALU_DEP_2)
	v_fma_f16 v6, v8, v9, -v10
	v_cvt_f32_f16_e32 v8, v11
	s_delay_alu instid0(VALU_DEP_2) | instskip(NEXT) | instid1(VALU_DEP_2)
	v_cvt_f32_f16_e32 v6, v6
	v_cvt_f64_f32_e32 v[8:9], v8
	s_delay_alu instid0(VALU_DEP_2) | instskip(NEXT) | instid1(VALU_DEP_2)
	v_cvt_f64_f32_e32 v[10:11], v6
	v_mul_f64_e32 v[8:9], s[8:9], v[8:9]
	s_delay_alu instid0(VALU_DEP_2) | instskip(NEXT) | instid1(VALU_DEP_2)
	v_mul_f64_e32 v[10:11], s[8:9], v[10:11]
	v_and_or_b32 v6, 0x1ff, v9, v8
	s_delay_alu instid0(VALU_DEP_2)
	v_and_or_b32 v10, 0x1ff, v11, v10
	v_lshrrev_b32_e32 v8, 8, v9
	v_bfe_u32 v12, v9, 20, 11
	v_lshrrev_b32_e32 v13, 8, v11
	v_cmp_ne_u32_e32 vcc_lo, 0, v6
	v_bfe_u32 v14, v11, 20, 11
	v_lshrrev_b32_e32 v9, 16, v9
	v_sub_nc_u32_e32 v15, 0x3f1, v12
	v_add_nc_u32_e32 v12, 0xfffffc10, v12
	s_wait_alu 0xfffd
	v_cndmask_b32_e64 v6, 0, 1, vcc_lo
	v_cmp_ne_u32_e32 vcc_lo, 0, v10
	v_lshrrev_b32_e32 v11, 16, v11
	s_delay_alu instid0(VALU_DEP_3) | instskip(SKIP_4) | instid1(VALU_DEP_3)
	v_and_or_b32 v6, 0xffe, v8, v6
	s_wait_alu 0xfffd
	v_cndmask_b32_e64 v10, 0, 1, vcc_lo
	v_sub_nc_u32_e32 v8, 0x3f1, v14
	v_add_nc_u32_e32 v14, 0xfffffc10, v14
	v_and_or_b32 v10, 0xffe, v13, v10
	v_med3_i32 v13, v15, 0, 13
	v_or_b32_e32 v15, 0x1000, v6
	v_med3_i32 v8, v8, 0, 13
	s_delay_alu instid0(VALU_DEP_4) | instskip(NEXT) | instid1(VALU_DEP_3)
	v_or_b32_e32 v16, 0x1000, v10
	v_lshrrev_b32_e32 v17, v13, v15
	s_delay_alu instid0(VALU_DEP_2) | instskip(NEXT) | instid1(VALU_DEP_2)
	v_lshrrev_b32_e32 v18, v8, v16
	v_lshlrev_b32_e32 v13, v13, v17
	s_delay_alu instid0(VALU_DEP_2) | instskip(NEXT) | instid1(VALU_DEP_2)
	v_lshlrev_b32_e32 v8, v8, v18
	v_cmp_ne_u32_e32 vcc_lo, v13, v15
	v_lshl_or_b32 v15, v12, 12, v6
	s_wait_alu 0xfffd
	v_cndmask_b32_e64 v13, 0, 1, vcc_lo
	v_cmp_ne_u32_e32 vcc_lo, v8, v16
	v_lshl_or_b32 v16, v14, 12, v10
	s_delay_alu instid0(VALU_DEP_3) | instskip(SKIP_3) | instid1(VALU_DEP_2)
	v_or_b32_e32 v13, v17, v13
	s_wait_alu 0xfffd
	v_cndmask_b32_e64 v8, 0, 1, vcc_lo
	v_cmp_gt_i32_e32 vcc_lo, 1, v12
	v_or_b32_e32 v8, v18, v8
	s_wait_alu 0xfffd
	v_cndmask_b32_e32 v13, v15, v13, vcc_lo
	v_cmp_gt_i32_e32 vcc_lo, 1, v14
	s_wait_alu 0xfffd
	s_delay_alu instid0(VALU_DEP_2) | instskip(SKIP_2) | instid1(VALU_DEP_3)
	v_dual_cndmask_b32 v8, v16, v8 :: v_dual_and_b32 v15, 7, v13
	v_cmp_ne_u32_e32 vcc_lo, 0, v6
	v_lshrrev_b32_e32 v13, 2, v13
	v_cmp_eq_u32_e64 s0, 3, v15
	s_delay_alu instid0(VALU_DEP_4)
	v_and_b32_e32 v16, 7, v8
	s_wait_alu 0xfffd
	v_cndmask_b32_e64 v6, 0, 1, vcc_lo
	v_cmp_ne_u32_e32 vcc_lo, 0, v10
	v_lshrrev_b32_e32 v8, 2, v8
	v_cmp_lt_i32_e64 s1, 5, v16
	v_cmp_eq_u32_e64 s2, 3, v16
	s_wait_alu 0xfffd
	v_cndmask_b32_e64 v10, 0, 1, vcc_lo
	v_cmp_lt_i32_e32 vcc_lo, 5, v15
	v_lshl_or_b32 v6, v6, 9, 0x7c00
	s_delay_alu instid0(VALU_DEP_3)
	v_lshl_or_b32 v10, v10, 9, 0x7c00
	s_or_b32 vcc_lo, s0, vcc_lo
	s_wait_alu 0xfffe
	v_add_co_ci_u32_e32 v13, vcc_lo, 0, v13, vcc_lo
	s_or_b32 vcc_lo, s2, s1
	s_wait_alu 0xfffe
	v_add_co_ci_u32_e32 v8, vcc_lo, 0, v8, vcc_lo
	v_cmp_gt_i32_e32 vcc_lo, 31, v12
	s_wait_alu 0xfffd
	v_cndmask_b32_e32 v13, 0x7c00, v13, vcc_lo
	v_cmp_gt_i32_e32 vcc_lo, 31, v14
	s_wait_alu 0xfffd
	v_cndmask_b32_e32 v8, 0x7c00, v8, vcc_lo
	v_cmp_eq_u32_e32 vcc_lo, 0x40f, v12
	s_wait_alu 0xfffd
	v_cndmask_b32_e32 v6, v13, v6, vcc_lo
	v_cmp_eq_u32_e32 vcc_lo, 0x40f, v14
	s_delay_alu instid0(VALU_DEP_2)
	v_and_or_b32 v6, 0x8000, v9, v6
	s_wait_alu 0xfffd
	v_cndmask_b32_e32 v8, v8, v10, vcc_lo
	v_add_co_u32 v4, vcc_lo, v4, s6
	s_wait_alu 0xfffd
	v_add_co_ci_u32_e32 v5, vcc_lo, s7, v5, vcc_lo
	s_delay_alu instid0(VALU_DEP_3) | instskip(SKIP_1) | instid1(VALU_DEP_1)
	v_and_or_b32 v8, 0x8000, v11, v8
	v_and_b32_e32 v6, 0xffff, v6
	v_lshl_or_b32 v6, v8, 16, v6
	v_lshrrev_b32_e32 v8, 16, v7
	global_store_b32 v[4:5], v6, off
	global_load_b32 v6, v28, s[12:13] offset:96
	s_wait_loadcnt 0x0
	v_lshrrev_b32_e32 v9, 16, v6
	s_delay_alu instid0(VALU_DEP_1) | instskip(SKIP_1) | instid1(VALU_DEP_2)
	v_mul_f16_e32 v10, v8, v9
	v_mul_f16_e32 v9, v7, v9
	v_fmac_f16_e32 v10, v7, v6
	s_delay_alu instid0(VALU_DEP_2) | instskip(NEXT) | instid1(VALU_DEP_2)
	v_fma_f16 v6, v6, v8, -v9
	v_cvt_f32_f16_e32 v7, v10
	s_delay_alu instid0(VALU_DEP_2) | instskip(NEXT) | instid1(VALU_DEP_2)
	v_cvt_f32_f16_e32 v8, v6
	v_cvt_f64_f32_e32 v[6:7], v7
	s_delay_alu instid0(VALU_DEP_2) | instskip(NEXT) | instid1(VALU_DEP_2)
	v_cvt_f64_f32_e32 v[8:9], v8
	v_mul_f64_e32 v[6:7], s[8:9], v[6:7]
	s_delay_alu instid0(VALU_DEP_2) | instskip(NEXT) | instid1(VALU_DEP_2)
	v_mul_f64_e32 v[8:9], s[8:9], v[8:9]
	v_and_or_b32 v6, 0x1ff, v7, v6
	s_delay_alu instid0(VALU_DEP_2)
	v_and_or_b32 v8, 0x1ff, v9, v8
	v_lshrrev_b32_e32 v10, 8, v7
	v_bfe_u32 v12, v7, 20, 11
	v_bfe_u32 v13, v9, 20, 11
	v_cmp_ne_u32_e32 vcc_lo, 0, v6
	v_lshrrev_b32_e32 v11, 8, v9
	v_lshrrev_b32_e32 v9, 16, v9
	v_sub_nc_u32_e32 v14, 0x3f1, v12
	v_sub_nc_u32_e32 v15, 0x3f1, v13
	s_wait_alu 0xfffd
	v_cndmask_b32_e64 v6, 0, 1, vcc_lo
	v_cmp_ne_u32_e32 vcc_lo, 0, v8
	v_add_nc_u32_e32 v13, 0xfffffc10, v13
	s_delay_alu instid0(VALU_DEP_3)
	v_and_or_b32 v16, 0xffe, v10, v6
	s_wait_alu 0xfffd
	v_cndmask_b32_e64 v8, 0, 1, vcc_lo
	v_med3_i32 v6, v14, 0, 13
	v_med3_i32 v14, v15, 0, 13
	v_or_b32_e32 v15, 0x1000, v16
	s_delay_alu instid0(VALU_DEP_4) | instskip(SKIP_1) | instid1(VALU_DEP_3)
	v_and_or_b32 v8, 0xffe, v11, v8
	v_mad_co_u64_u32 v[10:11], null, s4, v30, 0
	v_lshrrev_b32_e32 v18, v6, v15
	s_delay_alu instid0(VALU_DEP_3) | instskip(NEXT) | instid1(VALU_DEP_2)
	v_or_b32_e32 v17, 0x1000, v8
	v_lshlrev_b32_e32 v20, v6, v18
	s_delay_alu instid0(VALU_DEP_2) | instskip(SKIP_1) | instid1(VALU_DEP_3)
	v_lshrrev_b32_e32 v19, v14, v17
	v_mov_b32_e32 v6, v11
	v_cmp_ne_u32_e32 vcc_lo, v20, v15
	s_delay_alu instid0(VALU_DEP_3) | instskip(SKIP_3) | instid1(VALU_DEP_3)
	v_lshlrev_b32_e32 v11, v14, v19
	v_add_nc_u32_e32 v14, 0xfffffc10, v12
	s_wait_alu 0xfffd
	v_cndmask_b32_e64 v15, 0, 1, vcc_lo
	v_cmp_ne_u32_e32 vcc_lo, v11, v17
	v_mad_co_u64_u32 v[11:12], null, s5, v30, v[6:7]
	v_lshl_or_b32 v6, v14, 12, v16
	s_delay_alu instid0(VALU_DEP_4)
	v_or_b32_e32 v12, v18, v15
	s_wait_alu 0xfffd
	v_cndmask_b32_e64 v17, 0, 1, vcc_lo
	v_cmp_gt_i32_e32 vcc_lo, 1, v14
	v_lshl_or_b32 v15, v13, 12, v8
	v_lshrrev_b32_e32 v7, 16, v7
	s_delay_alu instid0(VALU_DEP_4)
	v_or_b32_e32 v17, v19, v17
	s_wait_alu 0xfffd
	v_cndmask_b32_e32 v6, v6, v12, vcc_lo
	v_cmp_gt_i32_e32 vcc_lo, 1, v13
	s_wait_alu 0xfffd
	v_cndmask_b32_e32 v12, v15, v17, vcc_lo
	v_cmp_ne_u32_e32 vcc_lo, 0, v16
	v_and_b32_e32 v16, 7, v6
	v_lshrrev_b32_e32 v6, 2, v6
	s_delay_alu instid0(VALU_DEP_4)
	v_and_b32_e32 v17, 7, v12
	s_wait_alu 0xfffd
	v_cndmask_b32_e64 v15, 0, 1, vcc_lo
	v_cmp_ne_u32_e32 vcc_lo, 0, v8
	v_cmp_eq_u32_e64 s0, 3, v16
	v_lshrrev_b32_e32 v12, 2, v12
	v_cmp_lt_i32_e64 s1, 5, v17
	v_cmp_eq_u32_e64 s2, 3, v17
	s_wait_alu 0xfffd
	v_cndmask_b32_e64 v8, 0, 1, vcc_lo
	v_cmp_lt_i32_e32 vcc_lo, 5, v16
	v_lshl_or_b32 v15, v15, 9, 0x7c00
	s_delay_alu instid0(VALU_DEP_3)
	v_lshl_or_b32 v8, v8, 9, 0x7c00
	s_or_b32 vcc_lo, s0, vcc_lo
	s_wait_alu 0xfffe
	v_add_co_ci_u32_e32 v6, vcc_lo, 0, v6, vcc_lo
	s_or_b32 vcc_lo, s2, s1
	s_wait_alu 0xfffe
	v_add_co_ci_u32_e32 v12, vcc_lo, 0, v12, vcc_lo
	v_cmp_gt_i32_e32 vcc_lo, 31, v14
	s_wait_alu 0xfffd
	v_cndmask_b32_e32 v6, 0x7c00, v6, vcc_lo
	v_cmp_gt_i32_e32 vcc_lo, 31, v13
	s_wait_alu 0xfffd
	v_cndmask_b32_e32 v12, 0x7c00, v12, vcc_lo
	v_cmp_eq_u32_e32 vcc_lo, 0x40f, v14
	s_wait_alu 0xfffd
	v_cndmask_b32_e32 v6, v6, v15, vcc_lo
	v_cmp_eq_u32_e32 vcc_lo, 0x40f, v13
	s_wait_alu 0xfffd
	v_cndmask_b32_e32 v8, v12, v8, vcc_lo
	s_delay_alu instid0(VALU_DEP_3) | instskip(SKIP_1) | instid1(VALU_DEP_3)
	v_and_or_b32 v12, 0x8000, v7, v6
	v_lshlrev_b64_e32 v[6:7], 2, v[10:11]
	v_and_or_b32 v8, 0x8000, v9, v8
	s_delay_alu instid0(VALU_DEP_3) | instskip(NEXT) | instid1(VALU_DEP_3)
	v_and_b32_e32 v9, 0xffff, v12
	v_add_co_u32 v6, vcc_lo, v1, v6
	s_wait_alu 0xfffd
	s_delay_alu instid0(VALU_DEP_4) | instskip(NEXT) | instid1(VALU_DEP_3)
	v_add_co_ci_u32_e32 v7, vcc_lo, v2, v7, vcc_lo
	v_lshl_or_b32 v8, v8, 16, v9
	global_store_b32 v[6:7], v8, off
	global_load_b32 v8, v28, s[12:13] offset:108
	ds_load_2addr_b32 v[6:7], v3 offset0:27 offset1:30
	s_wait_dscnt 0x0
	v_lshrrev_b32_e32 v9, 16, v6
	s_wait_loadcnt 0x0
	v_lshrrev_b32_e32 v10, 16, v8
	s_delay_alu instid0(VALU_DEP_1) | instskip(SKIP_1) | instid1(VALU_DEP_2)
	v_mul_f16_e32 v11, v9, v10
	v_mul_f16_e32 v10, v6, v10
	v_fmac_f16_e32 v11, v6, v8
	s_delay_alu instid0(VALU_DEP_2) | instskip(NEXT) | instid1(VALU_DEP_2)
	v_fma_f16 v6, v8, v9, -v10
	v_cvt_f32_f16_e32 v8, v11
	s_delay_alu instid0(VALU_DEP_2) | instskip(NEXT) | instid1(VALU_DEP_2)
	v_cvt_f32_f16_e32 v6, v6
	v_cvt_f64_f32_e32 v[8:9], v8
	s_delay_alu instid0(VALU_DEP_2) | instskip(NEXT) | instid1(VALU_DEP_2)
	v_cvt_f64_f32_e32 v[10:11], v6
	v_mul_f64_e32 v[8:9], s[8:9], v[8:9]
	s_delay_alu instid0(VALU_DEP_2) | instskip(NEXT) | instid1(VALU_DEP_2)
	v_mul_f64_e32 v[10:11], s[8:9], v[10:11]
	v_and_or_b32 v6, 0x1ff, v9, v8
	s_delay_alu instid0(VALU_DEP_2)
	v_and_or_b32 v10, 0x1ff, v11, v10
	v_lshrrev_b32_e32 v8, 8, v9
	v_bfe_u32 v12, v9, 20, 11
	v_lshrrev_b32_e32 v13, 8, v11
	v_cmp_ne_u32_e32 vcc_lo, 0, v6
	v_bfe_u32 v14, v11, 20, 11
	v_lshrrev_b32_e32 v9, 16, v9
	v_sub_nc_u32_e32 v15, 0x3f1, v12
	v_add_nc_u32_e32 v12, 0xfffffc10, v12
	s_wait_alu 0xfffd
	v_cndmask_b32_e64 v6, 0, 1, vcc_lo
	v_cmp_ne_u32_e32 vcc_lo, 0, v10
	v_lshrrev_b32_e32 v11, 16, v11
	s_delay_alu instid0(VALU_DEP_3) | instskip(SKIP_4) | instid1(VALU_DEP_3)
	v_and_or_b32 v6, 0xffe, v8, v6
	s_wait_alu 0xfffd
	v_cndmask_b32_e64 v10, 0, 1, vcc_lo
	v_sub_nc_u32_e32 v8, 0x3f1, v14
	v_add_nc_u32_e32 v14, 0xfffffc10, v14
	v_and_or_b32 v10, 0xffe, v13, v10
	v_med3_i32 v13, v15, 0, 13
	v_or_b32_e32 v15, 0x1000, v6
	v_med3_i32 v8, v8, 0, 13
	s_delay_alu instid0(VALU_DEP_4) | instskip(NEXT) | instid1(VALU_DEP_3)
	v_or_b32_e32 v16, 0x1000, v10
	v_lshrrev_b32_e32 v17, v13, v15
	s_delay_alu instid0(VALU_DEP_2) | instskip(NEXT) | instid1(VALU_DEP_2)
	v_lshrrev_b32_e32 v18, v8, v16
	v_lshlrev_b32_e32 v13, v13, v17
	s_delay_alu instid0(VALU_DEP_2) | instskip(NEXT) | instid1(VALU_DEP_2)
	v_lshlrev_b32_e32 v8, v8, v18
	v_cmp_ne_u32_e32 vcc_lo, v13, v15
	v_lshl_or_b32 v15, v12, 12, v6
	s_wait_alu 0xfffd
	v_cndmask_b32_e64 v13, 0, 1, vcc_lo
	v_cmp_ne_u32_e32 vcc_lo, v8, v16
	v_lshl_or_b32 v16, v14, 12, v10
	s_delay_alu instid0(VALU_DEP_3) | instskip(SKIP_3) | instid1(VALU_DEP_2)
	v_or_b32_e32 v13, v17, v13
	s_wait_alu 0xfffd
	v_cndmask_b32_e64 v8, 0, 1, vcc_lo
	v_cmp_gt_i32_e32 vcc_lo, 1, v12
	v_or_b32_e32 v8, v18, v8
	s_wait_alu 0xfffd
	v_cndmask_b32_e32 v13, v15, v13, vcc_lo
	v_cmp_gt_i32_e32 vcc_lo, 1, v14
	s_wait_alu 0xfffd
	s_delay_alu instid0(VALU_DEP_2) | instskip(SKIP_2) | instid1(VALU_DEP_3)
	v_dual_cndmask_b32 v8, v16, v8 :: v_dual_and_b32 v15, 7, v13
	v_cmp_ne_u32_e32 vcc_lo, 0, v6
	v_lshrrev_b32_e32 v13, 2, v13
	v_cmp_eq_u32_e64 s0, 3, v15
	s_delay_alu instid0(VALU_DEP_4)
	v_and_b32_e32 v16, 7, v8
	s_wait_alu 0xfffd
	v_cndmask_b32_e64 v6, 0, 1, vcc_lo
	v_cmp_ne_u32_e32 vcc_lo, 0, v10
	v_lshrrev_b32_e32 v8, 2, v8
	v_cmp_lt_i32_e64 s1, 5, v16
	v_cmp_eq_u32_e64 s2, 3, v16
	s_wait_alu 0xfffd
	v_cndmask_b32_e64 v10, 0, 1, vcc_lo
	v_cmp_lt_i32_e32 vcc_lo, 5, v15
	v_lshl_or_b32 v6, v6, 9, 0x7c00
	s_delay_alu instid0(VALU_DEP_3)
	v_lshl_or_b32 v10, v10, 9, 0x7c00
	s_or_b32 vcc_lo, s0, vcc_lo
	s_wait_alu 0xfffe
	v_add_co_ci_u32_e32 v13, vcc_lo, 0, v13, vcc_lo
	s_or_b32 vcc_lo, s2, s1
	s_wait_alu 0xfffe
	v_add_co_ci_u32_e32 v8, vcc_lo, 0, v8, vcc_lo
	v_cmp_gt_i32_e32 vcc_lo, 31, v12
	s_wait_alu 0xfffd
	v_cndmask_b32_e32 v13, 0x7c00, v13, vcc_lo
	v_cmp_gt_i32_e32 vcc_lo, 31, v14
	s_wait_alu 0xfffd
	v_cndmask_b32_e32 v8, 0x7c00, v8, vcc_lo
	v_cmp_eq_u32_e32 vcc_lo, 0x40f, v12
	s_wait_alu 0xfffd
	v_cndmask_b32_e32 v6, v13, v6, vcc_lo
	v_cmp_eq_u32_e32 vcc_lo, 0x40f, v14
	s_delay_alu instid0(VALU_DEP_2)
	v_and_or_b32 v6, 0x8000, v9, v6
	s_wait_alu 0xfffd
	v_cndmask_b32_e32 v8, v8, v10, vcc_lo
	v_add_co_u32 v4, vcc_lo, v4, s10
	s_wait_alu 0xfffd
	v_add_co_ci_u32_e32 v5, vcc_lo, s11, v5, vcc_lo
	s_delay_alu instid0(VALU_DEP_3) | instskip(SKIP_1) | instid1(VALU_DEP_1)
	v_and_or_b32 v8, 0x8000, v11, v8
	v_and_b32_e32 v6, 0xffff, v6
	v_lshl_or_b32 v6, v8, 16, v6
	v_lshrrev_b32_e32 v8, 16, v7
	global_store_b32 v[4:5], v6, off
	global_load_b32 v6, v28, s[12:13] offset:120
	s_wait_loadcnt 0x0
	v_lshrrev_b32_e32 v9, 16, v6
	s_delay_alu instid0(VALU_DEP_1) | instskip(SKIP_1) | instid1(VALU_DEP_2)
	v_mul_f16_e32 v10, v8, v9
	v_mul_f16_e32 v9, v7, v9
	v_fmac_f16_e32 v10, v7, v6
	s_delay_alu instid0(VALU_DEP_2) | instskip(NEXT) | instid1(VALU_DEP_2)
	v_fma_f16 v6, v6, v8, -v9
	v_cvt_f32_f16_e32 v7, v10
	s_delay_alu instid0(VALU_DEP_2) | instskip(NEXT) | instid1(VALU_DEP_2)
	v_cvt_f32_f16_e32 v8, v6
	v_cvt_f64_f32_e32 v[6:7], v7
	s_delay_alu instid0(VALU_DEP_2) | instskip(NEXT) | instid1(VALU_DEP_2)
	v_cvt_f64_f32_e32 v[8:9], v8
	v_mul_f64_e32 v[6:7], s[8:9], v[6:7]
	s_delay_alu instid0(VALU_DEP_2) | instskip(NEXT) | instid1(VALU_DEP_2)
	v_mul_f64_e32 v[8:9], s[8:9], v[8:9]
	v_and_or_b32 v6, 0x1ff, v7, v6
	s_delay_alu instid0(VALU_DEP_2)
	v_and_or_b32 v8, 0x1ff, v9, v8
	v_lshrrev_b32_e32 v10, 8, v7
	v_bfe_u32 v11, v7, 20, 11
	v_lshrrev_b32_e32 v12, 8, v9
	v_cmp_ne_u32_e32 vcc_lo, 0, v6
	v_bfe_u32 v13, v9, 20, 11
	v_lshrrev_b32_e32 v7, 16, v7
	v_sub_nc_u32_e32 v14, 0x3f1, v11
	v_add_nc_u32_e32 v11, 0xfffffc10, v11
	s_wait_alu 0xfffd
	v_cndmask_b32_e64 v6, 0, 1, vcc_lo
	v_cmp_ne_u32_e32 vcc_lo, 0, v8
	v_lshrrev_b32_e32 v9, 16, v9
	s_delay_alu instid0(VALU_DEP_3) | instskip(SKIP_4) | instid1(VALU_DEP_3)
	v_and_or_b32 v6, 0xffe, v10, v6
	s_wait_alu 0xfffd
	v_cndmask_b32_e64 v8, 0, 1, vcc_lo
	v_sub_nc_u32_e32 v10, 0x3f1, v13
	v_add_nc_u32_e32 v13, 0xfffffc10, v13
	v_and_or_b32 v8, 0xffe, v12, v8
	v_med3_i32 v12, v14, 0, 13
	v_or_b32_e32 v14, 0x1000, v6
	v_med3_i32 v10, v10, 0, 13
	s_delay_alu instid0(VALU_DEP_4) | instskip(NEXT) | instid1(VALU_DEP_3)
	v_or_b32_e32 v15, 0x1000, v8
	v_lshrrev_b32_e32 v16, v12, v14
	s_delay_alu instid0(VALU_DEP_2) | instskip(NEXT) | instid1(VALU_DEP_2)
	v_lshrrev_b32_e32 v17, v10, v15
	v_lshlrev_b32_e32 v12, v12, v16
	s_delay_alu instid0(VALU_DEP_2) | instskip(NEXT) | instid1(VALU_DEP_2)
	v_lshlrev_b32_e32 v10, v10, v17
	v_cmp_ne_u32_e32 vcc_lo, v12, v14
	v_lshl_or_b32 v14, v11, 12, v6
	s_wait_alu 0xfffd
	v_cndmask_b32_e64 v12, 0, 1, vcc_lo
	v_cmp_ne_u32_e32 vcc_lo, v10, v15
	v_lshl_or_b32 v15, v13, 12, v8
	s_delay_alu instid0(VALU_DEP_3) | instskip(SKIP_3) | instid1(VALU_DEP_2)
	v_or_b32_e32 v12, v16, v12
	s_wait_alu 0xfffd
	v_cndmask_b32_e64 v10, 0, 1, vcc_lo
	v_cmp_gt_i32_e32 vcc_lo, 1, v11
	v_or_b32_e32 v10, v17, v10
	s_wait_alu 0xfffd
	v_cndmask_b32_e32 v12, v14, v12, vcc_lo
	v_cmp_gt_i32_e32 vcc_lo, 1, v13
	s_delay_alu instid0(VALU_DEP_2)
	v_and_b32_e32 v14, 7, v12
	s_wait_alu 0xfffd
	v_cndmask_b32_e32 v10, v15, v10, vcc_lo
	v_cmp_ne_u32_e32 vcc_lo, 0, v6
	v_lshrrev_b32_e32 v12, 2, v12
	v_cmp_eq_u32_e64 s0, 3, v14
	s_delay_alu instid0(VALU_DEP_4)
	v_and_b32_e32 v15, 7, v10
	s_wait_alu 0xfffd
	v_cndmask_b32_e64 v6, 0, 1, vcc_lo
	v_cmp_ne_u32_e32 vcc_lo, 0, v8
	v_lshrrev_b32_e32 v10, 2, v10
	v_cmp_lt_i32_e64 s1, 5, v15
	v_cmp_eq_u32_e64 s2, 3, v15
	s_wait_alu 0xfffd
	v_cndmask_b32_e64 v8, 0, 1, vcc_lo
	v_cmp_lt_i32_e32 vcc_lo, 5, v14
	v_lshl_or_b32 v6, v6, 9, 0x7c00
	s_delay_alu instid0(VALU_DEP_3)
	v_lshl_or_b32 v8, v8, 9, 0x7c00
	s_or_b32 vcc_lo, s0, vcc_lo
	s_wait_alu 0xfffe
	v_add_co_ci_u32_e32 v12, vcc_lo, 0, v12, vcc_lo
	s_or_b32 vcc_lo, s2, s1
	s_wait_alu 0xfffe
	v_add_co_ci_u32_e32 v10, vcc_lo, 0, v10, vcc_lo
	v_cmp_gt_i32_e32 vcc_lo, 31, v11
	s_wait_alu 0xfffd
	v_cndmask_b32_e32 v12, 0x7c00, v12, vcc_lo
	v_cmp_gt_i32_e32 vcc_lo, 31, v13
	s_wait_alu 0xfffd
	v_cndmask_b32_e32 v10, 0x7c00, v10, vcc_lo
	v_cmp_eq_u32_e32 vcc_lo, 0x40f, v11
	s_wait_alu 0xfffd
	v_cndmask_b32_e32 v6, v12, v6, vcc_lo
	v_cmp_eq_u32_e32 vcc_lo, 0x40f, v13
	s_delay_alu instid0(VALU_DEP_2)
	v_and_or_b32 v6, 0x8000, v7, v6
	s_wait_alu 0xfffd
	v_cndmask_b32_e32 v8, v10, v8, vcc_lo
	v_add_co_u32 v4, vcc_lo, v4, s6
	s_wait_alu 0xfffd
	v_add_co_ci_u32_e32 v5, vcc_lo, s7, v5, vcc_lo
	s_delay_alu instid0(VALU_DEP_3) | instskip(SKIP_1) | instid1(VALU_DEP_1)
	v_and_or_b32 v7, 0x8000, v9, v8
	v_and_b32_e32 v6, 0xffff, v6
	v_lshl_or_b32 v6, v7, 16, v6
	global_store_b32 v[4:5], v6, off
	global_load_b32 v8, v28, s[12:13] offset:132
	ds_load_2addr_b32 v[6:7], v3 offset0:33 offset1:36
	s_wait_dscnt 0x0
	v_lshrrev_b32_e32 v9, 16, v6
	s_wait_loadcnt 0x0
	v_lshrrev_b32_e32 v10, 16, v8
	s_delay_alu instid0(VALU_DEP_1) | instskip(SKIP_1) | instid1(VALU_DEP_2)
	v_mul_f16_e32 v11, v9, v10
	v_mul_f16_e32 v10, v6, v10
	v_fmac_f16_e32 v11, v6, v8
	s_delay_alu instid0(VALU_DEP_2) | instskip(NEXT) | instid1(VALU_DEP_2)
	v_fma_f16 v6, v8, v9, -v10
	v_cvt_f32_f16_e32 v8, v11
	s_delay_alu instid0(VALU_DEP_2) | instskip(NEXT) | instid1(VALU_DEP_2)
	v_cvt_f32_f16_e32 v6, v6
	v_cvt_f64_f32_e32 v[8:9], v8
	s_delay_alu instid0(VALU_DEP_2) | instskip(NEXT) | instid1(VALU_DEP_2)
	v_cvt_f64_f32_e32 v[10:11], v6
	v_mul_f64_e32 v[8:9], s[8:9], v[8:9]
	s_delay_alu instid0(VALU_DEP_2) | instskip(NEXT) | instid1(VALU_DEP_2)
	v_mul_f64_e32 v[10:11], s[8:9], v[10:11]
	v_and_or_b32 v6, 0x1ff, v9, v8
	s_delay_alu instid0(VALU_DEP_2)
	v_and_or_b32 v10, 0x1ff, v11, v10
	v_lshrrev_b32_e32 v8, 8, v9
	v_bfe_u32 v12, v9, 20, 11
	v_lshrrev_b32_e32 v13, 8, v11
	v_cmp_ne_u32_e32 vcc_lo, 0, v6
	v_bfe_u32 v14, v11, 20, 11
	v_lshrrev_b32_e32 v9, 16, v9
	v_sub_nc_u32_e32 v15, 0x3f1, v12
	v_add_nc_u32_e32 v12, 0xfffffc10, v12
	s_wait_alu 0xfffd
	v_cndmask_b32_e64 v6, 0, 1, vcc_lo
	v_cmp_ne_u32_e32 vcc_lo, 0, v10
	v_lshrrev_b32_e32 v11, 16, v11
	s_delay_alu instid0(VALU_DEP_3) | instskip(SKIP_4) | instid1(VALU_DEP_3)
	v_and_or_b32 v6, 0xffe, v8, v6
	s_wait_alu 0xfffd
	v_cndmask_b32_e64 v10, 0, 1, vcc_lo
	v_sub_nc_u32_e32 v8, 0x3f1, v14
	v_add_nc_u32_e32 v14, 0xfffffc10, v14
	v_and_or_b32 v10, 0xffe, v13, v10
	v_med3_i32 v13, v15, 0, 13
	v_or_b32_e32 v15, 0x1000, v6
	v_med3_i32 v8, v8, 0, 13
	s_delay_alu instid0(VALU_DEP_4) | instskip(NEXT) | instid1(VALU_DEP_3)
	v_or_b32_e32 v16, 0x1000, v10
	v_lshrrev_b32_e32 v17, v13, v15
	s_delay_alu instid0(VALU_DEP_2) | instskip(NEXT) | instid1(VALU_DEP_2)
	v_lshrrev_b32_e32 v18, v8, v16
	v_lshlrev_b32_e32 v13, v13, v17
	s_delay_alu instid0(VALU_DEP_2) | instskip(NEXT) | instid1(VALU_DEP_2)
	v_lshlrev_b32_e32 v8, v8, v18
	v_cmp_ne_u32_e32 vcc_lo, v13, v15
	v_lshl_or_b32 v15, v12, 12, v6
	s_wait_alu 0xfffd
	v_cndmask_b32_e64 v13, 0, 1, vcc_lo
	v_cmp_ne_u32_e32 vcc_lo, v8, v16
	v_lshl_or_b32 v16, v14, 12, v10
	s_delay_alu instid0(VALU_DEP_3) | instskip(SKIP_3) | instid1(VALU_DEP_2)
	v_or_b32_e32 v13, v17, v13
	s_wait_alu 0xfffd
	v_cndmask_b32_e64 v8, 0, 1, vcc_lo
	v_cmp_gt_i32_e32 vcc_lo, 1, v12
	v_or_b32_e32 v8, v18, v8
	s_wait_alu 0xfffd
	v_cndmask_b32_e32 v13, v15, v13, vcc_lo
	v_cmp_gt_i32_e32 vcc_lo, 1, v14
	s_wait_alu 0xfffd
	s_delay_alu instid0(VALU_DEP_2) | instskip(SKIP_2) | instid1(VALU_DEP_3)
	v_dual_cndmask_b32 v8, v16, v8 :: v_dual_and_b32 v15, 7, v13
	v_cmp_ne_u32_e32 vcc_lo, 0, v6
	v_lshrrev_b32_e32 v13, 2, v13
	v_cmp_eq_u32_e64 s0, 3, v15
	s_delay_alu instid0(VALU_DEP_4)
	v_and_b32_e32 v16, 7, v8
	s_wait_alu 0xfffd
	v_cndmask_b32_e64 v6, 0, 1, vcc_lo
	v_cmp_ne_u32_e32 vcc_lo, 0, v10
	v_lshrrev_b32_e32 v8, 2, v8
	v_cmp_lt_i32_e64 s1, 5, v16
	v_cmp_eq_u32_e64 s2, 3, v16
	s_wait_alu 0xfffd
	v_cndmask_b32_e64 v10, 0, 1, vcc_lo
	v_cmp_lt_i32_e32 vcc_lo, 5, v15
	v_lshl_or_b32 v6, v6, 9, 0x7c00
	s_delay_alu instid0(VALU_DEP_3)
	v_lshl_or_b32 v10, v10, 9, 0x7c00
	s_or_b32 vcc_lo, s0, vcc_lo
	s_wait_alu 0xfffe
	v_add_co_ci_u32_e32 v13, vcc_lo, 0, v13, vcc_lo
	s_or_b32 vcc_lo, s2, s1
	s_wait_alu 0xfffe
	v_add_co_ci_u32_e32 v8, vcc_lo, 0, v8, vcc_lo
	v_cmp_gt_i32_e32 vcc_lo, 31, v12
	s_wait_alu 0xfffd
	v_cndmask_b32_e32 v13, 0x7c00, v13, vcc_lo
	v_cmp_gt_i32_e32 vcc_lo, 31, v14
	s_wait_alu 0xfffd
	v_cndmask_b32_e32 v8, 0x7c00, v8, vcc_lo
	v_cmp_eq_u32_e32 vcc_lo, 0x40f, v12
	s_wait_alu 0xfffd
	v_cndmask_b32_e32 v6, v13, v6, vcc_lo
	v_cmp_eq_u32_e32 vcc_lo, 0x40f, v14
	s_delay_alu instid0(VALU_DEP_2)
	v_and_or_b32 v6, 0x8000, v9, v6
	s_wait_alu 0xfffd
	v_cndmask_b32_e32 v8, v8, v10, vcc_lo
	v_add_co_u32 v4, vcc_lo, v4, s6
	s_wait_alu 0xfffd
	v_add_co_ci_u32_e32 v5, vcc_lo, s7, v5, vcc_lo
	s_delay_alu instid0(VALU_DEP_3) | instskip(SKIP_1) | instid1(VALU_DEP_1)
	v_and_or_b32 v8, 0x8000, v11, v8
	v_and_b32_e32 v6, 0xffff, v6
	v_lshl_or_b32 v6, v8, 16, v6
	v_lshrrev_b32_e32 v8, 16, v7
	global_store_b32 v[4:5], v6, off
	global_load_b32 v6, v28, s[12:13] offset:144
	s_wait_loadcnt 0x0
	v_lshrrev_b32_e32 v9, 16, v6
	s_delay_alu instid0(VALU_DEP_1) | instskip(SKIP_1) | instid1(VALU_DEP_2)
	v_mul_f16_e32 v10, v8, v9
	v_mul_f16_e32 v9, v7, v9
	v_fmac_f16_e32 v10, v7, v6
	s_delay_alu instid0(VALU_DEP_2) | instskip(NEXT) | instid1(VALU_DEP_2)
	v_fma_f16 v6, v6, v8, -v9
	v_cvt_f32_f16_e32 v7, v10
	s_delay_alu instid0(VALU_DEP_2) | instskip(NEXT) | instid1(VALU_DEP_2)
	v_cvt_f32_f16_e32 v8, v6
	v_cvt_f64_f32_e32 v[6:7], v7
	s_delay_alu instid0(VALU_DEP_2) | instskip(NEXT) | instid1(VALU_DEP_2)
	v_cvt_f64_f32_e32 v[8:9], v8
	v_mul_f64_e32 v[6:7], s[8:9], v[6:7]
	s_delay_alu instid0(VALU_DEP_2) | instskip(NEXT) | instid1(VALU_DEP_2)
	v_mul_f64_e32 v[8:9], s[8:9], v[8:9]
	v_and_or_b32 v6, 0x1ff, v7, v6
	s_delay_alu instid0(VALU_DEP_2)
	v_and_or_b32 v8, 0x1ff, v9, v8
	v_lshrrev_b32_e32 v10, 8, v7
	v_bfe_u32 v12, v7, 20, 11
	v_bfe_u32 v13, v9, 20, 11
	v_cmp_ne_u32_e32 vcc_lo, 0, v6
	v_lshrrev_b32_e32 v11, 8, v9
	v_lshrrev_b32_e32 v9, 16, v9
	v_sub_nc_u32_e32 v14, 0x3f1, v12
	v_sub_nc_u32_e32 v15, 0x3f1, v13
	s_wait_alu 0xfffd
	v_cndmask_b32_e64 v6, 0, 1, vcc_lo
	v_cmp_ne_u32_e32 vcc_lo, 0, v8
	v_add_nc_u32_e32 v13, 0xfffffc10, v13
	s_delay_alu instid0(VALU_DEP_3)
	v_and_or_b32 v16, 0xffe, v10, v6
	s_wait_alu 0xfffd
	v_cndmask_b32_e64 v8, 0, 1, vcc_lo
	v_med3_i32 v6, v14, 0, 13
	v_med3_i32 v14, v15, 0, 13
	v_or_b32_e32 v15, 0x1000, v16
	s_delay_alu instid0(VALU_DEP_4) | instskip(SKIP_1) | instid1(VALU_DEP_3)
	v_and_or_b32 v8, 0xffe, v11, v8
	v_mad_co_u64_u32 v[10:11], null, s4, v29, 0
	v_lshrrev_b32_e32 v18, v6, v15
	s_delay_alu instid0(VALU_DEP_3) | instskip(NEXT) | instid1(VALU_DEP_2)
	v_or_b32_e32 v17, 0x1000, v8
	v_lshlrev_b32_e32 v20, v6, v18
	s_delay_alu instid0(VALU_DEP_2) | instskip(SKIP_1) | instid1(VALU_DEP_3)
	v_lshrrev_b32_e32 v19, v14, v17
	v_mov_b32_e32 v6, v11
	v_cmp_ne_u32_e32 vcc_lo, v20, v15
	s_delay_alu instid0(VALU_DEP_3) | instskip(SKIP_3) | instid1(VALU_DEP_3)
	v_lshlrev_b32_e32 v11, v14, v19
	v_add_nc_u32_e32 v14, 0xfffffc10, v12
	s_wait_alu 0xfffd
	v_cndmask_b32_e64 v15, 0, 1, vcc_lo
	v_cmp_ne_u32_e32 vcc_lo, v11, v17
	v_mad_co_u64_u32 v[11:12], null, s5, v29, v[6:7]
	v_lshl_or_b32 v6, v14, 12, v16
	s_delay_alu instid0(VALU_DEP_4)
	v_or_b32_e32 v12, v18, v15
	s_wait_alu 0xfffd
	v_cndmask_b32_e64 v17, 0, 1, vcc_lo
	v_cmp_gt_i32_e32 vcc_lo, 1, v14
	v_lshl_or_b32 v15, v13, 12, v8
	v_lshrrev_b32_e32 v7, 16, v7
	s_delay_alu instid0(VALU_DEP_4)
	v_or_b32_e32 v17, v19, v17
	s_wait_alu 0xfffd
	v_cndmask_b32_e32 v6, v6, v12, vcc_lo
	v_cmp_gt_i32_e32 vcc_lo, 1, v13
	s_wait_alu 0xfffd
	v_cndmask_b32_e32 v12, v15, v17, vcc_lo
	v_cmp_ne_u32_e32 vcc_lo, 0, v16
	v_and_b32_e32 v16, 7, v6
	v_lshrrev_b32_e32 v6, 2, v6
	s_delay_alu instid0(VALU_DEP_4)
	v_and_b32_e32 v17, 7, v12
	s_wait_alu 0xfffd
	v_cndmask_b32_e64 v15, 0, 1, vcc_lo
	v_cmp_ne_u32_e32 vcc_lo, 0, v8
	v_cmp_eq_u32_e64 s0, 3, v16
	v_lshrrev_b32_e32 v12, 2, v12
	v_cmp_lt_i32_e64 s1, 5, v17
	v_cmp_eq_u32_e64 s2, 3, v17
	s_wait_alu 0xfffd
	v_cndmask_b32_e64 v8, 0, 1, vcc_lo
	v_cmp_lt_i32_e32 vcc_lo, 5, v16
	v_lshl_or_b32 v15, v15, 9, 0x7c00
	s_delay_alu instid0(VALU_DEP_3)
	v_lshl_or_b32 v8, v8, 9, 0x7c00
	s_or_b32 vcc_lo, s0, vcc_lo
	s_wait_alu 0xfffe
	v_add_co_ci_u32_e32 v6, vcc_lo, 0, v6, vcc_lo
	s_or_b32 vcc_lo, s2, s1
	s_wait_alu 0xfffe
	v_add_co_ci_u32_e32 v12, vcc_lo, 0, v12, vcc_lo
	v_cmp_gt_i32_e32 vcc_lo, 31, v14
	s_wait_alu 0xfffd
	v_cndmask_b32_e32 v6, 0x7c00, v6, vcc_lo
	v_cmp_gt_i32_e32 vcc_lo, 31, v13
	s_wait_alu 0xfffd
	v_cndmask_b32_e32 v12, 0x7c00, v12, vcc_lo
	v_cmp_eq_u32_e32 vcc_lo, 0x40f, v14
	s_wait_alu 0xfffd
	v_cndmask_b32_e32 v6, v6, v15, vcc_lo
	v_cmp_eq_u32_e32 vcc_lo, 0x40f, v13
	s_wait_alu 0xfffd
	v_cndmask_b32_e32 v8, v12, v8, vcc_lo
	s_delay_alu instid0(VALU_DEP_3) | instskip(SKIP_1) | instid1(VALU_DEP_3)
	v_and_or_b32 v12, 0x8000, v7, v6
	v_lshlrev_b64_e32 v[6:7], 2, v[10:11]
	v_and_or_b32 v8, 0x8000, v9, v8
	s_delay_alu instid0(VALU_DEP_3) | instskip(NEXT) | instid1(VALU_DEP_3)
	v_and_b32_e32 v9, 0xffff, v12
	v_add_co_u32 v6, vcc_lo, v1, v6
	s_wait_alu 0xfffd
	s_delay_alu instid0(VALU_DEP_4) | instskip(NEXT) | instid1(VALU_DEP_3)
	v_add_co_ci_u32_e32 v7, vcc_lo, v2, v7, vcc_lo
	v_lshl_or_b32 v8, v8, 16, v9
	global_store_b32 v[6:7], v8, off
	global_load_b32 v8, v28, s[12:13] offset:156
	ds_load_2addr_b32 v[6:7], v3 offset0:39 offset1:42
	s_wait_dscnt 0x0
	v_lshrrev_b32_e32 v9, 16, v6
	s_wait_loadcnt 0x0
	v_lshrrev_b32_e32 v10, 16, v8
	s_delay_alu instid0(VALU_DEP_1) | instskip(SKIP_1) | instid1(VALU_DEP_2)
	v_mul_f16_e32 v11, v9, v10
	v_mul_f16_e32 v10, v6, v10
	v_fmac_f16_e32 v11, v6, v8
	s_delay_alu instid0(VALU_DEP_2) | instskip(NEXT) | instid1(VALU_DEP_2)
	v_fma_f16 v6, v8, v9, -v10
	v_cvt_f32_f16_e32 v8, v11
	s_delay_alu instid0(VALU_DEP_2) | instskip(NEXT) | instid1(VALU_DEP_2)
	v_cvt_f32_f16_e32 v6, v6
	v_cvt_f64_f32_e32 v[8:9], v8
	s_delay_alu instid0(VALU_DEP_2) | instskip(NEXT) | instid1(VALU_DEP_2)
	v_cvt_f64_f32_e32 v[10:11], v6
	v_mul_f64_e32 v[8:9], s[8:9], v[8:9]
	s_delay_alu instid0(VALU_DEP_2) | instskip(NEXT) | instid1(VALU_DEP_2)
	v_mul_f64_e32 v[10:11], s[8:9], v[10:11]
	v_and_or_b32 v6, 0x1ff, v9, v8
	s_delay_alu instid0(VALU_DEP_2)
	v_and_or_b32 v10, 0x1ff, v11, v10
	v_lshrrev_b32_e32 v8, 8, v9
	v_bfe_u32 v12, v9, 20, 11
	v_lshrrev_b32_e32 v13, 8, v11
	v_cmp_ne_u32_e32 vcc_lo, 0, v6
	v_bfe_u32 v14, v11, 20, 11
	v_lshrrev_b32_e32 v9, 16, v9
	v_sub_nc_u32_e32 v15, 0x3f1, v12
	v_add_nc_u32_e32 v12, 0xfffffc10, v12
	s_wait_alu 0xfffd
	v_cndmask_b32_e64 v6, 0, 1, vcc_lo
	v_cmp_ne_u32_e32 vcc_lo, 0, v10
	v_lshrrev_b32_e32 v11, 16, v11
	s_delay_alu instid0(VALU_DEP_3) | instskip(SKIP_4) | instid1(VALU_DEP_3)
	v_and_or_b32 v6, 0xffe, v8, v6
	s_wait_alu 0xfffd
	v_cndmask_b32_e64 v10, 0, 1, vcc_lo
	v_sub_nc_u32_e32 v8, 0x3f1, v14
	v_add_nc_u32_e32 v14, 0xfffffc10, v14
	v_and_or_b32 v10, 0xffe, v13, v10
	v_med3_i32 v13, v15, 0, 13
	v_or_b32_e32 v15, 0x1000, v6
	v_med3_i32 v8, v8, 0, 13
	s_delay_alu instid0(VALU_DEP_4) | instskip(NEXT) | instid1(VALU_DEP_3)
	v_or_b32_e32 v16, 0x1000, v10
	v_lshrrev_b32_e32 v17, v13, v15
	s_delay_alu instid0(VALU_DEP_2) | instskip(NEXT) | instid1(VALU_DEP_2)
	v_lshrrev_b32_e32 v18, v8, v16
	v_lshlrev_b32_e32 v13, v13, v17
	s_delay_alu instid0(VALU_DEP_2) | instskip(NEXT) | instid1(VALU_DEP_2)
	v_lshlrev_b32_e32 v8, v8, v18
	v_cmp_ne_u32_e32 vcc_lo, v13, v15
	v_lshl_or_b32 v15, v12, 12, v6
	s_wait_alu 0xfffd
	v_cndmask_b32_e64 v13, 0, 1, vcc_lo
	v_cmp_ne_u32_e32 vcc_lo, v8, v16
	v_lshl_or_b32 v16, v14, 12, v10
	s_delay_alu instid0(VALU_DEP_3) | instskip(SKIP_3) | instid1(VALU_DEP_2)
	v_or_b32_e32 v13, v17, v13
	s_wait_alu 0xfffd
	v_cndmask_b32_e64 v8, 0, 1, vcc_lo
	v_cmp_gt_i32_e32 vcc_lo, 1, v12
	v_or_b32_e32 v8, v18, v8
	s_wait_alu 0xfffd
	v_cndmask_b32_e32 v13, v15, v13, vcc_lo
	v_cmp_gt_i32_e32 vcc_lo, 1, v14
	s_wait_alu 0xfffd
	s_delay_alu instid0(VALU_DEP_2) | instskip(SKIP_2) | instid1(VALU_DEP_3)
	v_dual_cndmask_b32 v8, v16, v8 :: v_dual_and_b32 v15, 7, v13
	v_cmp_ne_u32_e32 vcc_lo, 0, v6
	v_lshrrev_b32_e32 v13, 2, v13
	v_cmp_eq_u32_e64 s0, 3, v15
	s_delay_alu instid0(VALU_DEP_4)
	v_and_b32_e32 v16, 7, v8
	s_wait_alu 0xfffd
	v_cndmask_b32_e64 v6, 0, 1, vcc_lo
	v_cmp_ne_u32_e32 vcc_lo, 0, v10
	v_lshrrev_b32_e32 v8, 2, v8
	v_cmp_lt_i32_e64 s1, 5, v16
	v_cmp_eq_u32_e64 s2, 3, v16
	s_wait_alu 0xfffd
	v_cndmask_b32_e64 v10, 0, 1, vcc_lo
	v_cmp_lt_i32_e32 vcc_lo, 5, v15
	v_lshl_or_b32 v6, v6, 9, 0x7c00
	s_delay_alu instid0(VALU_DEP_3)
	v_lshl_or_b32 v10, v10, 9, 0x7c00
	s_or_b32 vcc_lo, s0, vcc_lo
	s_wait_alu 0xfffe
	v_add_co_ci_u32_e32 v13, vcc_lo, 0, v13, vcc_lo
	s_or_b32 vcc_lo, s2, s1
	s_wait_alu 0xfffe
	v_add_co_ci_u32_e32 v8, vcc_lo, 0, v8, vcc_lo
	v_cmp_gt_i32_e32 vcc_lo, 31, v12
	s_wait_alu 0xfffd
	v_cndmask_b32_e32 v13, 0x7c00, v13, vcc_lo
	v_cmp_gt_i32_e32 vcc_lo, 31, v14
	s_wait_alu 0xfffd
	v_cndmask_b32_e32 v8, 0x7c00, v8, vcc_lo
	v_cmp_eq_u32_e32 vcc_lo, 0x40f, v12
	s_wait_alu 0xfffd
	v_cndmask_b32_e32 v6, v13, v6, vcc_lo
	v_cmp_eq_u32_e32 vcc_lo, 0x40f, v14
	s_delay_alu instid0(VALU_DEP_2)
	v_and_or_b32 v6, 0x8000, v9, v6
	s_wait_alu 0xfffd
	v_cndmask_b32_e32 v8, v8, v10, vcc_lo
	v_add_co_u32 v4, vcc_lo, v4, s10
	s_wait_alu 0xfffd
	v_add_co_ci_u32_e32 v5, vcc_lo, s11, v5, vcc_lo
	s_delay_alu instid0(VALU_DEP_3) | instskip(SKIP_1) | instid1(VALU_DEP_1)
	v_and_or_b32 v8, 0x8000, v11, v8
	v_and_b32_e32 v6, 0xffff, v6
	v_lshl_or_b32 v6, v8, 16, v6
	v_lshrrev_b32_e32 v8, 16, v7
	global_store_b32 v[4:5], v6, off
	global_load_b32 v6, v28, s[12:13] offset:168
	s_wait_loadcnt 0x0
	v_lshrrev_b32_e32 v9, 16, v6
	s_delay_alu instid0(VALU_DEP_1) | instskip(SKIP_1) | instid1(VALU_DEP_2)
	v_mul_f16_e32 v10, v8, v9
	v_mul_f16_e32 v9, v7, v9
	v_fmac_f16_e32 v10, v7, v6
	s_delay_alu instid0(VALU_DEP_2) | instskip(NEXT) | instid1(VALU_DEP_2)
	v_fma_f16 v6, v6, v8, -v9
	v_cvt_f32_f16_e32 v7, v10
	s_delay_alu instid0(VALU_DEP_2) | instskip(NEXT) | instid1(VALU_DEP_2)
	v_cvt_f32_f16_e32 v8, v6
	v_cvt_f64_f32_e32 v[6:7], v7
	s_delay_alu instid0(VALU_DEP_2) | instskip(NEXT) | instid1(VALU_DEP_2)
	v_cvt_f64_f32_e32 v[8:9], v8
	v_mul_f64_e32 v[6:7], s[8:9], v[6:7]
	s_delay_alu instid0(VALU_DEP_2) | instskip(NEXT) | instid1(VALU_DEP_2)
	v_mul_f64_e32 v[8:9], s[8:9], v[8:9]
	v_and_or_b32 v6, 0x1ff, v7, v6
	s_delay_alu instid0(VALU_DEP_2)
	v_and_or_b32 v8, 0x1ff, v9, v8
	v_lshrrev_b32_e32 v10, 8, v7
	v_bfe_u32 v11, v7, 20, 11
	v_lshrrev_b32_e32 v12, 8, v9
	v_cmp_ne_u32_e32 vcc_lo, 0, v6
	v_bfe_u32 v13, v9, 20, 11
	v_lshrrev_b32_e32 v7, 16, v7
	v_sub_nc_u32_e32 v14, 0x3f1, v11
	v_add_nc_u32_e32 v11, 0xfffffc10, v11
	s_wait_alu 0xfffd
	v_cndmask_b32_e64 v6, 0, 1, vcc_lo
	v_cmp_ne_u32_e32 vcc_lo, 0, v8
	v_lshrrev_b32_e32 v9, 16, v9
	s_delay_alu instid0(VALU_DEP_3) | instskip(SKIP_4) | instid1(VALU_DEP_3)
	v_and_or_b32 v6, 0xffe, v10, v6
	s_wait_alu 0xfffd
	v_cndmask_b32_e64 v8, 0, 1, vcc_lo
	v_sub_nc_u32_e32 v10, 0x3f1, v13
	v_add_nc_u32_e32 v13, 0xfffffc10, v13
	v_and_or_b32 v8, 0xffe, v12, v8
	v_med3_i32 v12, v14, 0, 13
	v_or_b32_e32 v14, 0x1000, v6
	v_med3_i32 v10, v10, 0, 13
	s_delay_alu instid0(VALU_DEP_4) | instskip(NEXT) | instid1(VALU_DEP_3)
	v_or_b32_e32 v15, 0x1000, v8
	v_lshrrev_b32_e32 v16, v12, v14
	s_delay_alu instid0(VALU_DEP_2) | instskip(NEXT) | instid1(VALU_DEP_2)
	v_lshrrev_b32_e32 v17, v10, v15
	v_lshlrev_b32_e32 v12, v12, v16
	s_delay_alu instid0(VALU_DEP_2) | instskip(NEXT) | instid1(VALU_DEP_2)
	v_lshlrev_b32_e32 v10, v10, v17
	v_cmp_ne_u32_e32 vcc_lo, v12, v14
	v_lshl_or_b32 v14, v11, 12, v6
	s_wait_alu 0xfffd
	v_cndmask_b32_e64 v12, 0, 1, vcc_lo
	v_cmp_ne_u32_e32 vcc_lo, v10, v15
	v_lshl_or_b32 v15, v13, 12, v8
	s_delay_alu instid0(VALU_DEP_3) | instskip(SKIP_3) | instid1(VALU_DEP_2)
	v_or_b32_e32 v12, v16, v12
	s_wait_alu 0xfffd
	v_cndmask_b32_e64 v10, 0, 1, vcc_lo
	v_cmp_gt_i32_e32 vcc_lo, 1, v11
	v_or_b32_e32 v10, v17, v10
	s_wait_alu 0xfffd
	v_cndmask_b32_e32 v12, v14, v12, vcc_lo
	v_cmp_gt_i32_e32 vcc_lo, 1, v13
	s_delay_alu instid0(VALU_DEP_2)
	v_and_b32_e32 v14, 7, v12
	s_wait_alu 0xfffd
	v_cndmask_b32_e32 v10, v15, v10, vcc_lo
	v_cmp_ne_u32_e32 vcc_lo, 0, v6
	v_lshrrev_b32_e32 v12, 2, v12
	v_cmp_eq_u32_e64 s0, 3, v14
	s_delay_alu instid0(VALU_DEP_4)
	v_and_b32_e32 v15, 7, v10
	s_wait_alu 0xfffd
	v_cndmask_b32_e64 v6, 0, 1, vcc_lo
	v_cmp_ne_u32_e32 vcc_lo, 0, v8
	v_lshrrev_b32_e32 v10, 2, v10
	v_cmp_lt_i32_e64 s1, 5, v15
	v_cmp_eq_u32_e64 s2, 3, v15
	s_wait_alu 0xfffd
	v_cndmask_b32_e64 v8, 0, 1, vcc_lo
	v_cmp_lt_i32_e32 vcc_lo, 5, v14
	v_lshl_or_b32 v6, v6, 9, 0x7c00
	s_delay_alu instid0(VALU_DEP_3)
	v_lshl_or_b32 v8, v8, 9, 0x7c00
	s_or_b32 vcc_lo, s0, vcc_lo
	s_wait_alu 0xfffe
	v_add_co_ci_u32_e32 v12, vcc_lo, 0, v12, vcc_lo
	s_or_b32 vcc_lo, s2, s1
	s_wait_alu 0xfffe
	v_add_co_ci_u32_e32 v10, vcc_lo, 0, v10, vcc_lo
	v_cmp_gt_i32_e32 vcc_lo, 31, v11
	s_wait_alu 0xfffd
	v_cndmask_b32_e32 v12, 0x7c00, v12, vcc_lo
	v_cmp_gt_i32_e32 vcc_lo, 31, v13
	s_wait_alu 0xfffd
	v_cndmask_b32_e32 v10, 0x7c00, v10, vcc_lo
	v_cmp_eq_u32_e32 vcc_lo, 0x40f, v11
	s_wait_alu 0xfffd
	v_cndmask_b32_e32 v6, v12, v6, vcc_lo
	v_cmp_eq_u32_e32 vcc_lo, 0x40f, v13
	s_delay_alu instid0(VALU_DEP_2)
	v_and_or_b32 v6, 0x8000, v7, v6
	s_wait_alu 0xfffd
	v_cndmask_b32_e32 v8, v10, v8, vcc_lo
	v_add_co_u32 v4, vcc_lo, v4, s6
	s_wait_alu 0xfffd
	v_add_co_ci_u32_e32 v5, vcc_lo, s7, v5, vcc_lo
	s_delay_alu instid0(VALU_DEP_3) | instskip(SKIP_1) | instid1(VALU_DEP_1)
	v_and_or_b32 v7, 0x8000, v9, v8
	v_and_b32_e32 v6, 0xffff, v6
	v_lshl_or_b32 v6, v7, 16, v6
	global_store_b32 v[4:5], v6, off
	global_load_b32 v8, v28, s[12:13] offset:180
	ds_load_2addr_b32 v[6:7], v3 offset0:45 offset1:48
	s_wait_dscnt 0x0
	v_lshrrev_b32_e32 v3, 16, v6
	s_wait_loadcnt 0x0
	v_lshrrev_b32_e32 v9, 16, v8
	s_delay_alu instid0(VALU_DEP_1) | instskip(SKIP_1) | instid1(VALU_DEP_2)
	v_mul_f16_e32 v10, v3, v9
	v_mul_f16_e32 v9, v6, v9
	v_fmac_f16_e32 v10, v6, v8
	s_delay_alu instid0(VALU_DEP_2) | instskip(NEXT) | instid1(VALU_DEP_2)
	v_fma_f16 v3, v8, v3, -v9
	v_cvt_f32_f16_e32 v6, v10
	s_delay_alu instid0(VALU_DEP_2) | instskip(NEXT) | instid1(VALU_DEP_2)
	v_cvt_f32_f16_e32 v3, v3
	v_cvt_f64_f32_e32 v[8:9], v6
	s_delay_alu instid0(VALU_DEP_2) | instskip(NEXT) | instid1(VALU_DEP_2)
	v_cvt_f64_f32_e32 v[10:11], v3
	v_mul_f64_e32 v[8:9], s[8:9], v[8:9]
	s_delay_alu instid0(VALU_DEP_2) | instskip(NEXT) | instid1(VALU_DEP_2)
	v_mul_f64_e32 v[10:11], s[8:9], v[10:11]
	v_and_or_b32 v3, 0x1ff, v9, v8
	s_delay_alu instid0(VALU_DEP_2)
	v_and_or_b32 v10, 0x1ff, v11, v10
	v_lshrrev_b32_e32 v6, 8, v9
	v_bfe_u32 v8, v9, 20, 11
	v_lshrrev_b32_e32 v12, 8, v11
	v_cmp_ne_u32_e32 vcc_lo, 0, v3
	v_bfe_u32 v13, v11, 20, 11
	v_lshrrev_b32_e32 v9, 16, v9
	v_sub_nc_u32_e32 v14, 0x3f1, v8
	v_add_nc_u32_e32 v8, 0xfffffc10, v8
	s_wait_alu 0xfffd
	v_cndmask_b32_e64 v3, 0, 1, vcc_lo
	v_cmp_ne_u32_e32 vcc_lo, 0, v10
	s_delay_alu instid0(VALU_DEP_2) | instskip(SKIP_4) | instid1(VALU_DEP_3)
	v_and_or_b32 v3, 0xffe, v6, v3
	s_wait_alu 0xfffd
	v_cndmask_b32_e64 v10, 0, 1, vcc_lo
	v_sub_nc_u32_e32 v6, 0x3f1, v13
	v_add_nc_u32_e32 v13, 0xfffffc10, v13
	v_and_or_b32 v10, 0xffe, v12, v10
	v_med3_i32 v12, v14, 0, 13
	v_or_b32_e32 v14, 0x1000, v3
	v_med3_i32 v6, v6, 0, 13
	s_delay_alu instid0(VALU_DEP_4) | instskip(NEXT) | instid1(VALU_DEP_3)
	v_or_b32_e32 v15, 0x1000, v10
	v_lshrrev_b32_e32 v16, v12, v14
	s_delay_alu instid0(VALU_DEP_2) | instskip(NEXT) | instid1(VALU_DEP_2)
	v_lshrrev_b32_e32 v17, v6, v15
	v_lshlrev_b32_e32 v12, v12, v16
	s_delay_alu instid0(VALU_DEP_2) | instskip(NEXT) | instid1(VALU_DEP_2)
	v_lshlrev_b32_e32 v6, v6, v17
	v_cmp_ne_u32_e32 vcc_lo, v12, v14
	v_lshl_or_b32 v14, v8, 12, v3
	s_wait_alu 0xfffd
	v_cndmask_b32_e64 v12, 0, 1, vcc_lo
	v_cmp_ne_u32_e32 vcc_lo, v6, v15
	v_lshl_or_b32 v15, v13, 12, v10
	s_delay_alu instid0(VALU_DEP_3) | instskip(SKIP_3) | instid1(VALU_DEP_2)
	v_or_b32_e32 v12, v16, v12
	s_wait_alu 0xfffd
	v_cndmask_b32_e64 v6, 0, 1, vcc_lo
	v_cmp_gt_i32_e32 vcc_lo, 1, v8
	v_or_b32_e32 v6, v17, v6
	s_wait_alu 0xfffd
	v_cndmask_b32_e32 v12, v14, v12, vcc_lo
	v_cmp_gt_i32_e32 vcc_lo, 1, v13
	s_delay_alu instid0(VALU_DEP_2)
	v_and_b32_e32 v14, 7, v12
	s_wait_alu 0xfffd
	v_cndmask_b32_e32 v6, v15, v6, vcc_lo
	v_cmp_ne_u32_e32 vcc_lo, 0, v3
	v_lshrrev_b32_e32 v12, 2, v12
	v_cmp_eq_u32_e64 s0, 3, v14
	s_delay_alu instid0(VALU_DEP_4)
	v_and_b32_e32 v15, 7, v6
	s_wait_alu 0xfffd
	v_cndmask_b32_e64 v3, 0, 1, vcc_lo
	v_cmp_ne_u32_e32 vcc_lo, 0, v10
	v_lshrrev_b32_e32 v6, 2, v6
	v_cmp_lt_i32_e64 s1, 5, v15
	v_cmp_eq_u32_e64 s2, 3, v15
	s_wait_alu 0xfffd
	v_cndmask_b32_e64 v10, 0, 1, vcc_lo
	v_cmp_lt_i32_e32 vcc_lo, 5, v14
	v_lshl_or_b32 v3, v3, 9, 0x7c00
	s_delay_alu instid0(VALU_DEP_3)
	v_lshl_or_b32 v10, v10, 9, 0x7c00
	s_or_b32 vcc_lo, s0, vcc_lo
	s_wait_alu 0xfffe
	v_add_co_ci_u32_e32 v12, vcc_lo, 0, v12, vcc_lo
	s_or_b32 vcc_lo, s2, s1
	s_wait_alu 0xfffe
	v_add_co_ci_u32_e32 v6, vcc_lo, 0, v6, vcc_lo
	v_cmp_gt_i32_e32 vcc_lo, 31, v8
	s_wait_alu 0xfffd
	v_cndmask_b32_e32 v12, 0x7c00, v12, vcc_lo
	v_cmp_gt_i32_e32 vcc_lo, 31, v13
	s_wait_alu 0xfffd
	v_cndmask_b32_e32 v6, 0x7c00, v6, vcc_lo
	v_cmp_eq_u32_e32 vcc_lo, 0x40f, v8
	v_lshrrev_b32_e32 v8, 16, v11
	s_wait_alu 0xfffd
	v_cndmask_b32_e32 v3, v12, v3, vcc_lo
	v_cmp_eq_u32_e32 vcc_lo, 0x40f, v13
	s_delay_alu instid0(VALU_DEP_2) | instskip(SKIP_2) | instid1(VALU_DEP_1)
	v_and_or_b32 v3, 0x8000, v9, v3
	s_wait_alu 0xfffd
	v_cndmask_b32_e32 v6, v6, v10, vcc_lo
	v_and_or_b32 v6, 0x8000, v8, v6
	s_delay_alu instid0(VALU_DEP_3) | instskip(SKIP_3) | instid1(VALU_DEP_3)
	v_and_b32_e32 v8, 0xffff, v3
	v_add_co_u32 v3, vcc_lo, v4, s6
	s_wait_alu 0xfffd
	v_add_co_ci_u32_e32 v4, vcc_lo, s7, v5, vcc_lo
	v_lshl_or_b32 v5, v6, 16, v8
	global_store_b32 v[3:4], v5, off
	global_load_b32 v3, v28, s[12:13] offset:192
	v_lshrrev_b32_e32 v4, 16, v7
	s_wait_loadcnt 0x0
	v_lshrrev_b32_e32 v5, 16, v3
	s_delay_alu instid0(VALU_DEP_1) | instskip(SKIP_1) | instid1(VALU_DEP_2)
	v_mul_f16_e32 v6, v4, v5
	v_mul_f16_e32 v5, v7, v5
	v_fmac_f16_e32 v6, v7, v3
	s_delay_alu instid0(VALU_DEP_2) | instskip(NEXT) | instid1(VALU_DEP_2)
	v_fma_f16 v3, v3, v4, -v5
	v_cvt_f32_f16_e32 v4, v6
	s_delay_alu instid0(VALU_DEP_2) | instskip(NEXT) | instid1(VALU_DEP_2)
	v_cvt_f32_f16_e32 v5, v3
	v_cvt_f64_f32_e32 v[3:4], v4
	s_delay_alu instid0(VALU_DEP_2) | instskip(NEXT) | instid1(VALU_DEP_2)
	v_cvt_f64_f32_e32 v[5:6], v5
	v_mul_f64_e32 v[3:4], s[8:9], v[3:4]
	s_delay_alu instid0(VALU_DEP_2) | instskip(NEXT) | instid1(VALU_DEP_2)
	v_mul_f64_e32 v[5:6], s[8:9], v[5:6]
	v_and_or_b32 v3, 0x1ff, v4, v3
	s_delay_alu instid0(VALU_DEP_2)
	v_and_or_b32 v5, 0x1ff, v6, v5
	v_lshrrev_b32_e32 v7, 8, v4
	v_bfe_u32 v9, v4, 20, 11
	v_bfe_u32 v10, v6, 20, 11
	v_cmp_ne_u32_e32 vcc_lo, 0, v3
	v_lshrrev_b32_e32 v8, 8, v6
	v_lshrrev_b32_e32 v6, 16, v6
	v_sub_nc_u32_e32 v11, 0x3f1, v9
	v_sub_nc_u32_e32 v12, 0x3f1, v10
	s_wait_alu 0xfffd
	v_cndmask_b32_e64 v3, 0, 1, vcc_lo
	v_cmp_ne_u32_e32 vcc_lo, 0, v5
	v_add_nc_u32_e32 v10, 0xfffffc10, v10
	s_delay_alu instid0(VALU_DEP_3)
	v_and_or_b32 v13, 0xffe, v7, v3
	s_wait_alu 0xfffd
	v_cndmask_b32_e64 v5, 0, 1, vcc_lo
	v_med3_i32 v3, v11, 0, 13
	v_med3_i32 v11, v12, 0, 13
	v_or_b32_e32 v12, 0x1000, v13
	s_delay_alu instid0(VALU_DEP_4) | instskip(SKIP_1) | instid1(VALU_DEP_3)
	v_and_or_b32 v5, 0xffe, v8, v5
	v_mad_co_u64_u32 v[7:8], null, s4, v0, 0
	v_lshrrev_b32_e32 v15, v3, v12
	s_delay_alu instid0(VALU_DEP_3) | instskip(NEXT) | instid1(VALU_DEP_2)
	v_or_b32_e32 v14, 0x1000, v5
	v_lshlrev_b32_e32 v17, v3, v15
	s_delay_alu instid0(VALU_DEP_2) | instskip(SKIP_1) | instid1(VALU_DEP_3)
	v_lshrrev_b32_e32 v16, v11, v14
	v_mov_b32_e32 v3, v8
	v_cmp_ne_u32_e32 vcc_lo, v17, v12
	s_delay_alu instid0(VALU_DEP_3) | instskip(SKIP_3) | instid1(VALU_DEP_3)
	v_lshlrev_b32_e32 v8, v11, v16
	v_add_nc_u32_e32 v11, 0xfffffc10, v9
	s_wait_alu 0xfffd
	v_cndmask_b32_e64 v12, 0, 1, vcc_lo
	v_cmp_ne_u32_e32 vcc_lo, v8, v14
	v_mad_co_u64_u32 v[8:9], null, s5, v0, v[3:4]
	v_lshl_or_b32 v0, v11, 12, v13
	s_delay_alu instid0(VALU_DEP_4)
	v_or_b32_e32 v3, v15, v12
	s_wait_alu 0xfffd
	v_cndmask_b32_e64 v14, 0, 1, vcc_lo
	v_cmp_gt_i32_e32 vcc_lo, 1, v11
	v_lshl_or_b32 v9, v10, 12, v5
	v_lshrrev_b32_e32 v4, 16, v4
	s_delay_alu instid0(VALU_DEP_4)
	v_or_b32_e32 v12, v16, v14
	s_wait_alu 0xfffd
	v_cndmask_b32_e32 v0, v0, v3, vcc_lo
	v_cmp_gt_i32_e32 vcc_lo, 1, v10
	s_wait_alu 0xfffd
	v_cndmask_b32_e32 v3, v9, v12, vcc_lo
	v_cmp_ne_u32_e32 vcc_lo, 0, v13
	v_and_b32_e32 v12, 7, v0
	v_lshrrev_b32_e32 v0, 2, v0
	s_delay_alu instid0(VALU_DEP_4)
	v_and_b32_e32 v13, 7, v3
	s_wait_alu 0xfffd
	v_cndmask_b32_e64 v9, 0, 1, vcc_lo
	v_cmp_ne_u32_e32 vcc_lo, 0, v5
	v_cmp_eq_u32_e64 s0, 3, v12
	v_lshrrev_b32_e32 v3, 2, v3
	v_cmp_lt_i32_e64 s1, 5, v13
	v_cmp_eq_u32_e64 s2, 3, v13
	s_wait_alu 0xfffd
	v_cndmask_b32_e64 v5, 0, 1, vcc_lo
	v_cmp_lt_i32_e32 vcc_lo, 5, v12
	v_lshl_or_b32 v9, v9, 9, 0x7c00
	s_delay_alu instid0(VALU_DEP_3)
	v_lshl_or_b32 v5, v5, 9, 0x7c00
	s_or_b32 vcc_lo, s0, vcc_lo
	s_wait_alu 0xfffe
	v_add_co_ci_u32_e32 v0, vcc_lo, 0, v0, vcc_lo
	s_or_b32 vcc_lo, s2, s1
	s_wait_alu 0xfffe
	v_add_co_ci_u32_e32 v3, vcc_lo, 0, v3, vcc_lo
	v_cmp_gt_i32_e32 vcc_lo, 31, v11
	s_wait_alu 0xfffd
	v_cndmask_b32_e32 v0, 0x7c00, v0, vcc_lo
	v_cmp_gt_i32_e32 vcc_lo, 31, v10
	s_wait_alu 0xfffd
	v_cndmask_b32_e32 v3, 0x7c00, v3, vcc_lo
	v_cmp_eq_u32_e32 vcc_lo, 0x40f, v11
	s_wait_alu 0xfffd
	v_cndmask_b32_e32 v0, v0, v9, vcc_lo
	v_cmp_eq_u32_e32 vcc_lo, 0x40f, v10
	s_delay_alu instid0(VALU_DEP_2) | instskip(SKIP_1) | instid1(VALU_DEP_1)
	v_and_or_b32 v0, 0x8000, v4, v0
	s_wait_alu 0xfffd
	v_dual_cndmask_b32 v3, v3, v5 :: v_dual_and_b32 v0, 0xffff, v0
	s_delay_alu instid0(VALU_DEP_1) | instskip(SKIP_1) | instid1(VALU_DEP_2)
	v_and_or_b32 v5, 0x8000, v6, v3
	v_lshlrev_b64_e32 v[3:4], 2, v[7:8]
	v_lshl_or_b32 v5, v5, 16, v0
	s_delay_alu instid0(VALU_DEP_2) | instskip(SKIP_1) | instid1(VALU_DEP_3)
	v_add_co_u32 v0, vcc_lo, v1, v3
	s_wait_alu 0xfffd
	v_add_co_ci_u32_e32 v1, vcc_lo, v2, v4, vcc_lo
	global_store_b32 v[0:1], v5, off
.LBB0_15:
	s_nop 0
	s_sendmsg sendmsg(MSG_DEALLOC_VGPRS)
	s_endpgm
	.section	.rodata,"a",@progbits
	.p2align	6, 0x0
	.amdhsa_kernel bluestein_single_fwd_len51_dim1_half_op_CI_CI
		.amdhsa_group_segment_fixed_size 3060
		.amdhsa_private_segment_fixed_size 0
		.amdhsa_kernarg_size 104
		.amdhsa_user_sgpr_count 2
		.amdhsa_user_sgpr_dispatch_ptr 0
		.amdhsa_user_sgpr_queue_ptr 0
		.amdhsa_user_sgpr_kernarg_segment_ptr 1
		.amdhsa_user_sgpr_dispatch_id 0
		.amdhsa_user_sgpr_private_segment_size 0
		.amdhsa_wavefront_size32 1
		.amdhsa_uses_dynamic_stack 0
		.amdhsa_enable_private_segment 0
		.amdhsa_system_sgpr_workgroup_id_x 1
		.amdhsa_system_sgpr_workgroup_id_y 0
		.amdhsa_system_sgpr_workgroup_id_z 0
		.amdhsa_system_sgpr_workgroup_info 0
		.amdhsa_system_vgpr_workitem_id 0
		.amdhsa_next_free_vgpr 195
		.amdhsa_next_free_sgpr 16
		.amdhsa_reserve_vcc 1
		.amdhsa_float_round_mode_32 0
		.amdhsa_float_round_mode_16_64 0
		.amdhsa_float_denorm_mode_32 3
		.amdhsa_float_denorm_mode_16_64 3
		.amdhsa_fp16_overflow 0
		.amdhsa_workgroup_processor_mode 1
		.amdhsa_memory_ordered 1
		.amdhsa_forward_progress 0
		.amdhsa_round_robin_scheduling 0
		.amdhsa_exception_fp_ieee_invalid_op 0
		.amdhsa_exception_fp_denorm_src 0
		.amdhsa_exception_fp_ieee_div_zero 0
		.amdhsa_exception_fp_ieee_overflow 0
		.amdhsa_exception_fp_ieee_underflow 0
		.amdhsa_exception_fp_ieee_inexact 0
		.amdhsa_exception_int_div_zero 0
	.end_amdhsa_kernel
	.text
.Lfunc_end0:
	.size	bluestein_single_fwd_len51_dim1_half_op_CI_CI, .Lfunc_end0-bluestein_single_fwd_len51_dim1_half_op_CI_CI
                                        ; -- End function
	.section	.AMDGPU.csdata,"",@progbits
; Kernel info:
; codeLenInByte = 27416
; NumSgprs: 18
; NumVgprs: 195
; ScratchSize: 0
; MemoryBound: 0
; FloatMode: 240
; IeeeMode: 1
; LDSByteSize: 3060 bytes/workgroup (compile time only)
; SGPRBlocks: 2
; VGPRBlocks: 24
; NumSGPRsForWavesPerEU: 18
; NumVGPRsForWavesPerEU: 195
; Occupancy: 7
; WaveLimiterHint : 1
; COMPUTE_PGM_RSRC2:SCRATCH_EN: 0
; COMPUTE_PGM_RSRC2:USER_SGPR: 2
; COMPUTE_PGM_RSRC2:TRAP_HANDLER: 0
; COMPUTE_PGM_RSRC2:TGID_X_EN: 1
; COMPUTE_PGM_RSRC2:TGID_Y_EN: 0
; COMPUTE_PGM_RSRC2:TGID_Z_EN: 0
; COMPUTE_PGM_RSRC2:TIDIG_COMP_CNT: 0
	.text
	.p2alignl 7, 3214868480
	.fill 96, 4, 3214868480
	.type	__hip_cuid_f133fb086b55ffa2,@object ; @__hip_cuid_f133fb086b55ffa2
	.section	.bss,"aw",@nobits
	.globl	__hip_cuid_f133fb086b55ffa2
__hip_cuid_f133fb086b55ffa2:
	.byte	0                               ; 0x0
	.size	__hip_cuid_f133fb086b55ffa2, 1

	.ident	"AMD clang version 19.0.0git (https://github.com/RadeonOpenCompute/llvm-project roc-6.4.0 25133 c7fe45cf4b819c5991fe208aaa96edf142730f1d)"
	.section	".note.GNU-stack","",@progbits
	.addrsig
	.addrsig_sym __hip_cuid_f133fb086b55ffa2
	.amdgpu_metadata
---
amdhsa.kernels:
  - .args:
      - .actual_access:  read_only
        .address_space:  global
        .offset:         0
        .size:           8
        .value_kind:     global_buffer
      - .actual_access:  read_only
        .address_space:  global
        .offset:         8
        .size:           8
        .value_kind:     global_buffer
      - .actual_access:  read_only
        .address_space:  global
        .offset:         16
        .size:           8
        .value_kind:     global_buffer
      - .actual_access:  read_only
        .address_space:  global
        .offset:         24
        .size:           8
        .value_kind:     global_buffer
      - .actual_access:  read_only
        .address_space:  global
        .offset:         32
        .size:           8
        .value_kind:     global_buffer
      - .offset:         40
        .size:           8
        .value_kind:     by_value
      - .address_space:  global
        .offset:         48
        .size:           8
        .value_kind:     global_buffer
      - .address_space:  global
        .offset:         56
        .size:           8
        .value_kind:     global_buffer
      - .address_space:  global
        .offset:         64
        .size:           8
        .value_kind:     global_buffer
      - .address_space:  global
        .offset:         72
        .size:           8
        .value_kind:     global_buffer
      - .offset:         80
        .size:           4
        .value_kind:     by_value
      - .address_space:  global
        .offset:         88
        .size:           8
        .value_kind:     global_buffer
      - .address_space:  global
        .offset:         96
        .size:           8
        .value_kind:     global_buffer
    .group_segment_fixed_size: 3060
    .kernarg_segment_align: 8
    .kernarg_segment_size: 104
    .language:       OpenCL C
    .language_version:
      - 2
      - 0
    .max_flat_workgroup_size: 255
    .name:           bluestein_single_fwd_len51_dim1_half_op_CI_CI
    .private_segment_fixed_size: 0
    .sgpr_count:     18
    .sgpr_spill_count: 0
    .symbol:         bluestein_single_fwd_len51_dim1_half_op_CI_CI.kd
    .uniform_work_group_size: 1
    .uses_dynamic_stack: false
    .vgpr_count:     195
    .vgpr_spill_count: 0
    .wavefront_size: 32
    .workgroup_processor_mode: 1
amdhsa.target:   amdgcn-amd-amdhsa--gfx1201
amdhsa.version:
  - 1
  - 2
...

	.end_amdgpu_metadata
